;; amdgpu-corpus repo=ROCm/bitsandbytes kind=harvested arch=n/a opt=n/a
	.text
	.amdgcn_target "amdgcn-amd-amdhsa--gfx1100"
	.amdhsa_code_object_version 6
	.protected	_Z26kOptimizerStatic8bit2StateI6__halfLi0EEvPT_S2_PhS3_PKffffffifPfS6_S6_S6_S6_S6_ffi ; -- Begin function _Z26kOptimizerStatic8bit2StateI6__halfLi0EEvPT_S2_PhS3_PKffffffifPfS6_S6_S6_S6_S6_ffi
	.globl	_Z26kOptimizerStatic8bit2StateI6__halfLi0EEvPT_S2_PhS3_PKffffffifPfS6_S6_S6_S6_S6_ffi
	.p2align	8
	.type	_Z26kOptimizerStatic8bit2StateI6__halfLi0EEvPT_S2_PhS3_PKffffffifPfS6_S6_S6_S6_S6_ffi,@function
_Z26kOptimizerStatic8bit2StateI6__halfLi0EEvPT_S2_PhS3_PKffffffifPfS6_S6_S6_S6_S6_ffi: ; @_Z26kOptimizerStatic8bit2StateI6__halfLi0EEvPT_S2_PhS3_PKffffffifPfS6_S6_S6_S6_S6_ffi
; %bb.0:
	s_clause 0x3
	s_load_b256 s[16:23], s[0:1], 0x28
	s_load_b256 s[36:43], s[0:1], 0x0
	s_load_b64 s[2:3], s[0:1], 0x20
	s_load_b256 s[24:31], s[0:1], 0x58
	v_mov_b32_e32 v16, 1.0
	s_waitcnt lgkmcnt(0)
	v_cmp_ngt_f32_e64 s4, s16, 0
	s_delay_alu instid0(VALU_DEP_1)
	s_and_b32 vcc_lo, exec_lo, s4
	s_cbranch_vccnz .LBB92_3
; %bb.1:
	s_load_b32 s2, s[2:3], 0x0
	v_mov_b32_e32 v16, 1.0
	s_waitcnt lgkmcnt(0)
	v_mul_f32_e64 v1, 0x4f800000, s2
	v_cmp_gt_f32_e64 vcc_lo, 0xf800000, s2
	s_delay_alu instid0(VALU_DEP_2) | instskip(NEXT) | instid1(VALU_DEP_1)
	v_cndmask_b32_e32 v2, s2, v1, vcc_lo
	v_sqrt_f32_e32 v1, v2
	s_waitcnt_depctr 0xfff
	v_add_nc_u32_e32 v3, -1, v1
	v_add_nc_u32_e32 v4, 1, v1
	s_delay_alu instid0(VALU_DEP_2) | instskip(NEXT) | instid1(VALU_DEP_2)
	v_fma_f32 v5, -v3, v1, v2
	v_fma_f32 v6, -v4, v1, v2
	s_delay_alu instid0(VALU_DEP_2) | instskip(NEXT) | instid1(VALU_DEP_1)
	v_cmp_ge_f32_e64 s2, 0, v5
	v_cndmask_b32_e64 v1, v1, v3, s2
	s_delay_alu instid0(VALU_DEP_3) | instskip(NEXT) | instid1(VALU_DEP_1)
	v_cmp_lt_f32_e64 s2, 0, v6
	v_cndmask_b32_e64 v1, v1, v4, s2
	s_delay_alu instid0(VALU_DEP_1) | instskip(NEXT) | instid1(VALU_DEP_1)
	v_mul_f32_e32 v3, 0x37800000, v1
	v_cndmask_b32_e32 v3, v1, v3, vcc_lo
	v_cmp_class_f32_e64 vcc_lo, v2, 0x260
	v_mul_f32_e64 v1, s16, s17
	s_delay_alu instid0(VALU_DEP_3) | instskip(NEXT) | instid1(VALU_DEP_1)
	v_cndmask_b32_e32 v2, v3, v2, vcc_lo
	v_cmp_ngt_f32_e32 vcc_lo, v2, v1
	s_cbranch_vccnz .LBB92_3
; %bb.2:
	v_div_scale_f32 v3, null, v2, v2, v1
	s_delay_alu instid0(VALU_DEP_1) | instskip(SKIP_2) | instid1(VALU_DEP_1)
	v_rcp_f32_e32 v4, v3
	s_waitcnt_depctr 0xfff
	v_fma_f32 v5, -v3, v4, 1.0
	v_fmac_f32_e32 v4, v5, v4
	v_div_scale_f32 v5, vcc_lo, v1, v2, v1
	s_delay_alu instid0(VALU_DEP_1) | instskip(NEXT) | instid1(VALU_DEP_1)
	v_mul_f32_e32 v6, v5, v4
	v_fma_f32 v7, -v3, v6, v5
	s_delay_alu instid0(VALU_DEP_1) | instskip(NEXT) | instid1(VALU_DEP_1)
	v_fmac_f32_e32 v6, v7, v4
	v_fma_f32 v3, -v3, v6, v5
	s_delay_alu instid0(VALU_DEP_1) | instskip(NEXT) | instid1(VALU_DEP_1)
	v_div_fmas_f32 v3, v3, v4, v6
	v_div_fixup_f32 v16, v3, v2, v1
.LBB92_3:
	s_clause 0x1
	s_load_b32 s7, s[0:1], 0x88
	s_load_b32 s2, s[0:1], 0x94
	;; [unrolled: 1-line block ×4, first 2 shown]
	s_mov_b32 s3, exec_lo
	v_cmpx_gt_u32_e32 0x200, v0
	s_cbranch_execz .LBB92_8
; %bb.4:
	s_mov_b32 s4, exec_lo
	v_cmpx_lt_u32_e32 0xff, v0
	s_xor_b32 s4, exec_lo, s4
	s_cbranch_execz .LBB92_6
; %bb.5:
	s_load_b64 s[8:9], s[0:1], 0x50
	v_dual_mov_b32 v2, 0 :: v_dual_add_nc_u32 v1, 0xffffff00, v0
	s_delay_alu instid0(VALU_DEP_1) | instskip(SKIP_2) | instid1(VALU_DEP_2)
	v_lshlrev_b64 v[2:3], 2, v[1:2]
	v_lshlrev_b32_e32 v1, 2, v1
	s_waitcnt lgkmcnt(0)
	v_add_co_u32 v2, vcc_lo, s8, v2
	s_delay_alu instid0(VALU_DEP_3)
	v_add_co_ci_u32_e32 v3, vcc_lo, s9, v3, vcc_lo
	global_load_b32 v2, v[2:3], off
	s_waitcnt vmcnt(0)
	ds_store_b32 v1, v2 offset:9472
.LBB92_6:
	s_and_not1_saveexec_b32 s4, s4
	s_cbranch_execz .LBB92_8
; %bb.7:
	s_load_b64 s[4:5], s[0:1], 0x48
	v_lshlrev_b32_e32 v1, 2, v0
	s_waitcnt lgkmcnt(0)
	global_load_b32 v2, v1, s[4:5]
	s_waitcnt vmcnt(0)
	ds_store_b32 v1, v2 offset:8448
.LBB92_8:
	s_or_b32 exec_lo, exec_lo, s3
	s_waitcnt lgkmcnt(0)
	s_and_b32 s2, 0xffff, s2
	s_delay_alu instid0(SALU_CYCLE_1)
	s_mul_i32 s3, s7, s2
	s_mul_i32 s15, s15, s2
	s_lshl_b32 s14, s3, 2
	s_lshl_b32 s12, s15, 2
	s_barrier
	s_cmp_ge_u32 s12, s14
	buffer_gl0_inv
	s_cbranch_scc1 .LBB92_173
; %bb.9:
	v_cvt_f32_i32_e32 v1, s21
	v_cmp_neq_f32_e64 vcc_lo, s19, 1.0
	s_mov_b32 s5, 0x3e76c4e1
	s_load_b128 s[8:11], s[0:1], 0x78
	s_waitcnt lgkmcnt(0)
	s_lshl_b32 s11, s7, 12
                                        ; implicit-def: $vgpr50
                                        ; implicit-def: $vgpr51
	v_dual_mov_b32 v49, 0xff :: v_dual_cndmask_b32 v4, 1.0, v1
	v_cmp_neq_f32_e64 vcc_lo, s18, 1.0
	s_delay_alu instid0(VALU_DEP_2) | instskip(NEXT) | instid1(VALU_DEP_1)
	v_cmp_eq_f32_e64 s2, 0, v4
	v_cndmask_b32_e64 v3, |s19|, 1.0, s2
	s_delay_alu instid0(VALU_DEP_1) | instskip(SKIP_2) | instid1(VALU_DEP_2)
	v_frexp_mant_f32_e32 v2, v3
	v_fma_f32 v39, -s22, s8, 1.0
	s_sub_i32 s15, s10, s12
	v_cmp_gt_f32_e64 s3, 0x3f2aaaab, v2
	s_delay_alu instid0(VALU_DEP_1) | instskip(NEXT) | instid1(VALU_DEP_1)
	v_cndmask_b32_e64 v5, 1.0, 2.0, s3
	v_mul_f32_e32 v5, v2, v5
	s_delay_alu instid0(VALU_DEP_1) | instskip(NEXT) | instid1(VALU_DEP_1)
	v_add_f32_e32 v6, 1.0, v5
	v_add_f32_e32 v10, -1.0, v6
	s_delay_alu instid0(VALU_DEP_1) | instskip(SKIP_2) | instid1(VALU_DEP_1)
	v_dual_add_f32 v8, -1.0, v5 :: v_dual_sub_f32 v5, v5, v10
	v_rcp_f32_e32 v7, v6
	v_cndmask_b32_e32 v2, 1.0, v1, vcc_lo
	v_cmp_eq_f32_e32 vcc_lo, 0, v2
	s_waitcnt_depctr 0xfff
	v_mul_f32_e32 v9, v8, v7
	v_cndmask_b32_e64 v1, |s18|, 1.0, vcc_lo
	v_trunc_f32_e32 v33, v4
	s_delay_alu instid0(VALU_DEP_3) | instskip(NEXT) | instid1(VALU_DEP_3)
	v_dual_mul_f32 v34, 0.5, v4 :: v_dual_mul_f32 v11, v6, v9
	v_frexp_mant_f32_e32 v10, v1
	s_delay_alu instid0(VALU_DEP_2) | instskip(NEXT) | instid1(VALU_DEP_2)
	v_fma_f32 v6, v9, v6, -v11
	v_cmp_gt_f32_e64 s4, 0x3f2aaaab, v10
	s_delay_alu instid0(VALU_DEP_2) | instskip(NEXT) | instid1(VALU_DEP_2)
	v_fmac_f32_e32 v6, v9, v5
	v_cndmask_b32_e64 v5, 1.0, 2.0, s4
	s_delay_alu instid0(VALU_DEP_1) | instskip(NEXT) | instid1(VALU_DEP_1)
	v_dual_add_f32 v12, v11, v6 :: v_dual_mul_f32 v5, v10, v5
	v_sub_f32_e32 v11, v12, v11
	s_delay_alu instid0(VALU_DEP_2) | instskip(NEXT) | instid1(VALU_DEP_2)
	v_dual_sub_f32 v10, v8, v12 :: v_dual_add_f32 v13, 1.0, v5
	v_dual_sub_f32 v6, v11, v6 :: v_dual_add_f32 v11, -1.0, v5
	s_delay_alu instid0(VALU_DEP_2) | instskip(NEXT) | instid1(VALU_DEP_3)
	v_sub_f32_e32 v8, v8, v10
	v_rcp_f32_e32 v14, v13
	s_delay_alu instid0(VALU_DEP_1) | instskip(NEXT) | instid1(VALU_DEP_1)
	v_sub_f32_e32 v8, v8, v12
	v_add_f32_e32 v6, v6, v8
	s_waitcnt_depctr 0xfff
	v_mul_f32_e32 v8, v11, v14
	v_add_f32_e32 v6, v10, v6
	s_delay_alu instid0(VALU_DEP_1) | instskip(NEXT) | instid1(VALU_DEP_3)
	v_dual_add_f32 v10, -1.0, v13 :: v_dual_mul_f32 v7, v7, v6
	v_mul_f32_e32 v12, v13, v8
	s_delay_alu instid0(VALU_DEP_2) | instskip(NEXT) | instid1(VALU_DEP_2)
	v_sub_f32_e32 v5, v5, v10
	v_fma_f32 v10, v8, v13, -v12
	s_delay_alu instid0(VALU_DEP_4) | instskip(NEXT) | instid1(VALU_DEP_1)
	v_add_f32_e32 v13, v9, v7
	v_sub_f32_e32 v9, v13, v9
	v_mul_f32_e32 v17, v13, v13
	s_delay_alu instid0(VALU_DEP_2) | instskip(SKIP_2) | instid1(VALU_DEP_4)
	v_sub_f32_e32 v7, v7, v9
	v_fmac_f32_e32 v10, v8, v5
	v_cvt_f64_f32_e32 v[5:6], v3
	v_fma_f32 v18, v13, v13, -v17
	s_delay_alu instid0(VALU_DEP_4) | instskip(NEXT) | instid1(VALU_DEP_1)
	v_add_f32_e32 v19, v7, v7
	v_dual_add_f32 v15, v12, v10 :: v_dual_fmac_f32 v18, v13, v19
	s_delay_alu instid0(VALU_DEP_1) | instskip(SKIP_1) | instid1(VALU_DEP_1)
	v_sub_f32_e32 v9, v11, v15
	v_sub_f32_e32 v12, v15, v12
	v_dual_sub_f32 v11, v11, v9 :: v_dual_sub_f32 v10, v12, v10
	s_delay_alu instid0(VALU_DEP_1) | instskip(NEXT) | instid1(VALU_DEP_1)
	v_sub_f32_e32 v11, v11, v15
	v_add_f32_e32 v10, v10, v11
	s_delay_alu instid0(VALU_DEP_1) | instskip(NEXT) | instid1(VALU_DEP_1)
	v_add_f32_e32 v9, v9, v10
	v_dual_add_f32 v12, v17, v18 :: v_dual_mul_f32 v9, v14, v9
	s_delay_alu instid0(VALU_DEP_1) | instskip(NEXT) | instid1(VALU_DEP_2)
	v_fmaak_f32 v11, s5, v12, 0x3e91f4c4
	v_dual_mul_f32 v22, v13, v12 :: v_dual_add_f32 v15, v8, v9
	s_delay_alu instid0(VALU_DEP_2) | instskip(SKIP_1) | instid1(VALU_DEP_1)
	v_fmaak_f32 v10, v12, v11, 0x3ecccdef
	v_sub_f32_e32 v11, v12, v17
	v_sub_f32_e32 v11, v18, v11
	v_frexp_exp_i32_f64_e32 v18, v[5:6]
	s_delay_alu instid0(VALU_DEP_4) | instskip(NEXT) | instid1(VALU_DEP_1)
	v_dual_sub_f32 v5, v15, v8 :: v_dual_mul_f32 v14, v12, v10
	v_sub_f32_e32 v9, v9, v5
	s_delay_alu instid0(VALU_DEP_2) | instskip(SKIP_1) | instid1(VALU_DEP_2)
	v_fma_f32 v17, v12, v10, -v14
	v_cvt_f64_f32_e32 v[5:6], v1
	v_dual_add_f32 v20, v9, v9 :: v_dual_fmac_f32 v17, v11, v10
	s_delay_alu instid0(VALU_DEP_1) | instskip(NEXT) | instid1(VALU_DEP_1)
	v_add_f32_e32 v10, v14, v17
	v_sub_f32_e32 v14, v10, v14
	v_mul_f32_e32 v8, v15, v15
	s_delay_alu instid0(VALU_DEP_1) | instskip(NEXT) | instid1(VALU_DEP_1)
	v_fma_f32 v19, v15, v15, -v8
	v_fmac_f32_e32 v19, v15, v20
	v_add_f32_e32 v21, 0x3f2aaaaa, v10
	v_sub_f32_e32 v14, v17, v14
	v_fma_f32 v20, v12, v13, -v22
	v_subrev_co_ci_u32_e64 v18, s3, 0, v18, s3
	s_delay_alu instid0(VALU_DEP_4) | instskip(NEXT) | instid1(VALU_DEP_4)
	v_add_f32_e32 v17, 0xbf2aaaaa, v21
	v_dual_add_f32 v23, v8, v19 :: v_dual_add_f32 v14, 0x31739010, v14
	s_delay_alu instid0(VALU_DEP_4) | instskip(SKIP_1) | instid1(VALU_DEP_4)
	v_fmac_f32_e32 v20, v12, v7
	v_ldexp_f32 v7, v7, 1
	v_sub_f32_e32 v10, v10, v17
	v_frexp_exp_i32_f64_e32 v5, v[5:6]
	v_cvt_f32_i32_e32 v6, v18
	v_fmac_f32_e32 v20, v11, v13
	s_delay_alu instid0(VALU_DEP_4) | instskip(NEXT) | instid1(VALU_DEP_2)
	v_add_f32_e32 v10, v14, v10
	v_add_f32_e32 v14, v22, v20
	s_delay_alu instid0(VALU_DEP_1) | instskip(SKIP_1) | instid1(VALU_DEP_1)
	v_sub_f32_e32 v22, v14, v22
	v_fmaak_f32 v12, s5, v23, 0x3e91f4c4
	v_fmaak_f32 v11, v23, v12, 0x3ecccdef
	s_delay_alu instid0(VALU_DEP_1) | instskip(NEXT) | instid1(VALU_DEP_1)
	v_dual_mul_f32 v17, v23, v11 :: v_dual_add_f32 v12, v21, v10
	v_sub_f32_e32 v21, v21, v12
	v_mul_f32_e32 v24, v14, v12
	s_delay_alu instid0(VALU_DEP_2) | instskip(NEXT) | instid1(VALU_DEP_2)
	v_add_f32_e32 v10, v10, v21
	v_fma_f32 v21, v14, v12, -v24
	v_sub_f32_e32 v8, v23, v8
	v_subrev_co_ci_u32_e64 v5, s3, 0, v5, s4
	s_delay_alu instid0(VALU_DEP_2) | instskip(SKIP_1) | instid1(VALU_DEP_3)
	v_dual_fmac_f32 v21, v14, v10 :: v_dual_sub_f32 v8, v19, v8
	v_fma_f32 v19, v23, v11, -v17
	v_cvt_f32_i32_e32 v5, v5
	s_delay_alu instid0(VALU_DEP_2) | instskip(NEXT) | instid1(VALU_DEP_1)
	v_fmac_f32_e32 v19, v8, v11
	v_dual_sub_f32 v11, v20, v22 :: v_dual_add_f32 v10, v17, v19
	s_delay_alu instid0(VALU_DEP_1) | instskip(SKIP_1) | instid1(VALU_DEP_3)
	v_fmac_f32_e32 v21, v11, v12
	v_ldexp_f32 v11, v13, 1
	v_sub_f32_e32 v13, v10, v17
	v_add_f32_e32 v17, 0x3f2aaaaa, v10
	s_delay_alu instid0(VALU_DEP_2) | instskip(NEXT) | instid1(VALU_DEP_2)
	v_sub_f32_e32 v13, v19, v13
	v_dual_add_f32 v19, 0xbf2aaaaa, v17 :: v_dual_mul_f32 v12, v15, v23
	v_add_f32_e32 v18, v24, v21
	s_delay_alu instid0(VALU_DEP_2) | instskip(NEXT) | instid1(VALU_DEP_3)
	v_dual_add_f32 v13, 0x31739010, v13 :: v_dual_sub_f32 v10, v10, v19
	v_fma_f32 v20, v23, v15, -v12
	s_delay_alu instid0(VALU_DEP_3) | instskip(NEXT) | instid1(VALU_DEP_1)
	v_sub_f32_e32 v24, v18, v24
	v_dual_fmac_f32 v20, v23, v9 :: v_dual_sub_f32 v19, v21, v24
	v_ldexp_f32 v9, v9, 1
	s_delay_alu instid0(VALU_DEP_2) | instskip(NEXT) | instid1(VALU_DEP_3)
	v_add_f32_e32 v7, v7, v19
	v_fmac_f32_e32 v20, v8, v15
	v_add_f32_e32 v22, v11, v18
	v_mul_f32_e32 v14, 0x3f317218, v6
	s_delay_alu instid0(VALU_DEP_2) | instskip(NEXT) | instid1(VALU_DEP_2)
	v_dual_add_f32 v8, v13, v10 :: v_dual_sub_f32 v11, v22, v11
	v_fma_f32 v21, 0x3f317218, v6, -v14
	s_delay_alu instid0(VALU_DEP_1) | instskip(NEXT) | instid1(VALU_DEP_1)
	v_dual_fmac_f32 v21, 0xb102e308, v6 :: v_dual_add_f32 v6, v17, v8
	v_sub_f32_e32 v13, v17, v6
	s_delay_alu instid0(VALU_DEP_1) | instskip(SKIP_1) | instid1(VALU_DEP_1)
	v_add_f32_e32 v8, v8, v13
	v_sub_f32_e32 v10, v18, v11
	v_add_f32_e32 v7, v7, v10
	v_dual_add_f32 v11, v12, v20 :: v_dual_add_f32 v10, v14, v21
	s_delay_alu instid0(VALU_DEP_1) | instskip(NEXT) | instid1(VALU_DEP_1)
	v_sub_f32_e32 v12, v11, v12
	v_sub_f32_e32 v12, v20, v12
	s_delay_alu instid0(VALU_DEP_4) | instskip(NEXT) | instid1(VALU_DEP_1)
	v_add_f32_e32 v18, v22, v7
	v_add_f32_e32 v13, v10, v18
	v_mul_f32_e32 v17, v11, v6
	s_delay_alu instid0(VALU_DEP_1) | instskip(NEXT) | instid1(VALU_DEP_1)
	v_fma_f32 v19, v11, v6, -v17
	v_fmac_f32_e32 v19, v11, v8
	s_delay_alu instid0(VALU_DEP_1) | instskip(SKIP_2) | instid1(VALU_DEP_2)
	v_fmac_f32_e32 v19, v12, v6
	v_sub_f32_e32 v11, v18, v22
	v_mbcnt_lo_u32_b32 v22, -1, 0
	v_sub_f32_e32 v7, v7, v11
	s_delay_alu instid0(VALU_DEP_4) | instskip(SKIP_1) | instid1(VALU_DEP_4)
	v_add_f32_e32 v11, v17, v19
	v_sub_f32_e32 v20, v13, v10
	v_lshlrev_b32_e32 v29, 1, v22
	s_delay_alu instid0(VALU_DEP_3) | instskip(SKIP_1) | instid1(VALU_DEP_4)
	v_dual_sub_f32 v17, v11, v17 :: v_dual_sub_f32 v8, v10, v14
	v_ldexp_f32 v14, v15, 1
	v_sub_f32_e32 v15, v13, v20
	s_delay_alu instid0(VALU_DEP_3) | instskip(SKIP_1) | instid1(VALU_DEP_2)
	v_dual_sub_f32 v17, v19, v17 :: v_dual_sub_f32 v6, v21, v8
	v_sub_f32_e32 v8, v18, v20
	v_dual_sub_f32 v10, v10, v15 :: v_dual_add_f32 v9, v9, v17
	s_delay_alu instid0(VALU_DEP_3) | instskip(NEXT) | instid1(VALU_DEP_1)
	v_add_f32_e32 v15, v6, v7
	v_sub_f32_e32 v18, v15, v6
	s_delay_alu instid0(VALU_DEP_1) | instskip(NEXT) | instid1(VALU_DEP_1)
	v_dual_mul_f32 v12, 0x3f317218, v5 :: v_dual_sub_f32 v7, v7, v18
	v_fma_f32 v19, 0x3f317218, v5, -v12
	s_delay_alu instid0(VALU_DEP_1) | instskip(NEXT) | instid1(VALU_DEP_1)
	v_dual_add_f32 v8, v8, v10 :: v_dual_fmac_f32 v19, 0xb102e308, v5
	v_add_f32_e32 v8, v15, v8
	s_delay_alu instid0(VALU_DEP_1) | instskip(NEXT) | instid1(VALU_DEP_1)
	v_add_f32_e32 v20, v13, v8
	v_dual_add_f32 v10, v14, v11 :: v_dual_sub_f32 v13, v20, v13
	s_delay_alu instid0(VALU_DEP_1) | instskip(NEXT) | instid1(VALU_DEP_1)
	v_sub_f32_e32 v14, v10, v14
	v_sub_f32_e32 v11, v11, v14
	v_div_scale_f32 v14, s1, 1.0, s13, 1.0
	s_delay_alu instid0(VALU_DEP_2) | instskip(SKIP_1) | instid1(VALU_DEP_2)
	v_add_f32_e32 v5, v9, v11
	v_sub_f32_e32 v15, v15, v18
	v_add_f32_e32 v9, v10, v5
	s_delay_alu instid0(VALU_DEP_2) | instskip(NEXT) | instid1(VALU_DEP_2)
	v_sub_f32_e32 v6, v6, v15
	v_sub_f32_e32 v10, v9, v10
	s_delay_alu instid0(VALU_DEP_2) | instskip(NEXT) | instid1(VALU_DEP_2)
	v_dual_add_f32 v6, v7, v6 :: v_dual_sub_f32 v7, v8, v13
	v_dual_add_f32 v8, v12, v19 :: v_dual_sub_f32 v5, v5, v10
	s_delay_alu instid0(VALU_DEP_1) | instskip(SKIP_1) | instid1(VALU_DEP_2)
	v_dual_add_f32 v6, v6, v7 :: v_dual_add_f32 v11, v8, v9
	v_div_scale_f32 v7, null, s13, s13, 1.0
	v_sub_f32_e32 v15, v11, v8
	s_delay_alu instid0(VALU_DEP_1) | instskip(NEXT) | instid1(VALU_DEP_1)
	v_dual_sub_f32 v12, v8, v12 :: v_dual_sub_f32 v9, v9, v15
	v_dual_add_f32 v13, v20, v6 :: v_dual_sub_f32 v12, v19, v12
	s_delay_alu instid0(VALU_DEP_1) | instskip(SKIP_1) | instid1(VALU_DEP_2)
	v_sub_f32_e32 v17, v13, v20
	v_mul_f32_e32 v21, v4, v13
	v_sub_f32_e32 v6, v6, v17
	s_delay_alu instid0(VALU_DEP_2) | instskip(SKIP_3) | instid1(VALU_DEP_4)
	v_fma_f32 v10, v4, v13, -v21
	v_cmp_class_f32_e64 s0, v21, 0x204
	v_div_scale_f32 v13, null, s16, s16, 1.0
	v_sub_f32_e64 v17, 1.0, s18
	v_fmac_f32_e32 v10, v4, v6
	v_sub_f32_e32 v18, v11, v15
	v_add_f32_e32 v6, v12, v5
	v_rcp_f32_e32 v44, v13
	s_delay_alu instid0(VALU_DEP_3) | instskip(NEXT) | instid1(VALU_DEP_2)
	v_dual_add_f32 v15, v21, v10 :: v_dual_mov_b32 v20, 0x24fc
	v_dual_sub_f32 v19, v6, v12 :: v_dual_sub_f32 v8, v8, v18
	v_sub_f32_e64 v18, 1.0, s19
	s_delay_alu instid0(VALU_DEP_3) | instskip(SKIP_1) | instid1(VALU_DEP_4)
	v_cndmask_b32_e64 v23, v15, v21, s0
	v_sub_f32_e32 v15, v15, v21
	v_sub_f32_e32 v5, v5, v19
	v_add_f32_e32 v8, v9, v8
	v_div_scale_f32 v9, s3, 1.0, s16, 1.0
	v_cmp_eq_f32_e64 s0, 0x42b17218, v23
	v_cmp_neq_f32_e64 s4, 0x7f800000, |v23|
	s_delay_alu instid0(VALU_DEP_4) | instskip(SKIP_1) | instid1(VALU_DEP_4)
	v_add_f32_e32 v8, v6, v8
	v_dual_sub_f32 v6, v6, v19 :: v_dual_mov_b32 v19, 0
	v_cndmask_b32_e64 v26, 0, 0x37000000, s0
	v_add_co_u32 v31, s0, s40, v22
	s_delay_alu instid0(VALU_DEP_3) | instskip(SKIP_2) | instid1(VALU_DEP_3)
	v_sub_f32_e32 v6, v12, v6
	v_add_co_ci_u32_e64 v32, null, s41, 0, s0
	v_cmp_gt_f32_e64 s0, 0, v4
	v_add_f32_e32 v5, v5, v6
	v_add_f32_e32 v25, v11, v8
	s_delay_alu instid0(VALU_DEP_1) | instskip(NEXT) | instid1(VALU_DEP_1)
	v_sub_f32_e32 v11, v25, v11
	v_sub_f32_e32 v6, v8, v11
	v_lshlrev_b32_e32 v24, 2, v0
	v_rcp_f32_e32 v11, v7
	v_and_or_b32 v0, 0x3e0, v0, v22
	s_delay_alu instid0(VALU_DEP_3) | instskip(NEXT) | instid1(VALU_DEP_1)
	v_add_f32_e32 v5, v5, v6
	v_dual_add_f32 v30, v25, v5 :: v_dual_and_b32 v27, 0xf80, v24
	s_delay_alu instid0(VALU_DEP_1) | instskip(SKIP_1) | instid1(VALU_DEP_3)
	v_lshlrev_b32_e32 v36, 1, v27
	v_lshrrev_b32_e32 v37, 5, v27
	v_dual_sub_f32 v25, v30, v25 :: v_dual_sub_f32 v12, v23, v26
	s_delay_alu instid0(VALU_DEP_1) | instskip(NEXT) | instid1(VALU_DEP_1)
	v_dual_sub_f32 v5, v5, v25 :: v_dual_mul_f32 v8, 0x3fb8aa3b, v12
	v_fma_f32 v6, 0x3fb8aa3b, v12, -v8
	v_rndne_f32_e32 v28, v8
	s_delay_alu instid0(VALU_DEP_2) | instskip(NEXT) | instid1(VALU_DEP_2)
	v_fmac_f32_e32 v6, 0x32a5705f, v12
	v_sub_f32_e32 v8, v8, v28
	v_cvt_i32_f32_e32 v21, v28
	s_delay_alu instid0(VALU_DEP_2) | instskip(SKIP_1) | instid1(VALU_DEP_2)
	v_add_f32_e32 v6, v8, v6
	v_mul_f32_e32 v8, v2, v30
	v_exp_f32_e32 v6, v6
	s_delay_alu instid0(VALU_DEP_1) | instskip(SKIP_3) | instid1(VALU_DEP_4)
	v_fma_f32 v25, v2, v30, -v8
	v_cndmask_b32_e64 v30, s19, 1.0, s2
	v_cmp_eq_f32_e64 s2, v33, v4
	v_sub_f32_e32 v4, v10, v15
	v_fmac_f32_e32 v25, v2, v5
	v_trunc_f32_e32 v5, v34
	s_delay_alu instid0(VALU_DEP_3) | instskip(NEXT) | instid1(TRANS32_DEP_1)
	v_cndmask_b32_e64 v4, 0, v4, s4
	v_ldexp_f32 v6, v6, v21
	v_cmp_ngt_f32_e64 s4, 0xc2ce8ed0, v12
	v_add_f32_e32 v10, v8, v25
	s_delay_alu instid0(VALU_DEP_4) | instskip(NEXT) | instid1(VALU_DEP_3)
	v_add_f32_e32 v4, v26, v4
	v_cndmask_b32_e64 v6, 0, v6, s4
	v_cmp_class_f32_e64 s4, v8, 0x204
	s_delay_alu instid0(VALU_DEP_1) | instskip(SKIP_2) | instid1(VALU_DEP_3)
	v_cndmask_b32_e64 v15, v10, v8, s4
	v_cmp_nlt_f32_e64 s4, 0x42b17218, v12
	v_sub_f32_e32 v8, v10, v8
	v_cmp_eq_f32_e64 s5, 0x42b17218, v15
	s_delay_alu instid0(VALU_DEP_3) | instskip(SKIP_1) | instid1(VALU_DEP_4)
	v_cndmask_b32_e64 v6, 0x7f800000, v6, s4
	v_cmp_neq_f32_e64 s4, v5, v34
	v_sub_f32_e32 v8, v25, v8
	s_delay_alu instid0(VALU_DEP_4) | instskip(NEXT) | instid1(VALU_DEP_4)
	v_cndmask_b32_e64 v5, 0, 0x37000000, s5
	v_fma_f32 v4, v6, v4, v6
	v_cmp_class_f32_e64 s6, v6, 0x204
	s_and_b32 s4, s2, s4
	v_cmp_eq_f32_e64 s5, 0, v30
	v_cndmask_b32_e64 v12, 1.0, v30, s4
	v_sub_f32_e32 v23, v15, v5
	v_cndmask_b32_e64 v4, v4, v6, s6
	v_cndmask_b32_e64 v21, 0, v30, s4
	s_xor_b32 s0, s0, s5
	v_cmp_neq_f32_e64 s4, 0x7f800000, |v15|
	v_cndmask_b32_e64 v6, 0x7f800000, 0, s0
	v_bfi_b32 v4, 0x7fffffff, v4, v12
	v_mul_f32_e32 v26, 0x3fb8aa3b, v23
	v_add_co_u32 v12, s0, s42, v22
	s_delay_alu instid0(VALU_DEP_1)
	v_add_co_ci_u32_e64 v28, null, s43, 0, s0
	v_cmp_eq_f32_e64 s0, 0x7f800000, v3
	v_cndmask_b32_e64 v3, 0x7fc00000, v4, s2
	v_cmp_gt_f32_e64 s2, 0, v30
	v_fma_f32 v33, 0x3fb8aa3b, v23, -v26
	v_rndne_f32_e32 v34, v26
	v_bfi_b32 v6, 0x7fffffff, v6, v21
	s_or_b32 s0, s0, s5
	v_cndmask_b32_e64 v3, v4, v3, s2
	s_delay_alu instid0(VALU_DEP_3) | instskip(SKIP_2) | instid1(VALU_DEP_4)
	v_dual_fmac_f32 v33, 0x32a5705f, v23 :: v_dual_sub_f32 v4, v26, v34
	v_or_b32_e32 v22, v22, v27
	v_cvt_i32_f32_e32 v10, v34
	v_cndmask_b32_e64 v3, v3, v6, s0
	s_delay_alu instid0(VALU_DEP_4) | instskip(SKIP_1) | instid1(VALU_DEP_3)
	v_dual_add_f32 v4, v4, v33 :: v_dual_add_nc_u32 v21, 4, v24
	v_add_co_u32 v33, s2, s38, v29
	v_sub_f32_e32 v3, 1.0, v3
	v_add_co_ci_u32_e64 v35, null, s39, 0, s2
	v_cmp_o_f32_e64 s2, v30, v30
	v_exp_f32_e32 v4, v4
	v_or_b32_e32 v30, 64, v22
	v_cndmask_b32_e64 v8, 0, v8, s4
	v_cmp_ngt_f32_e64 s4, 0xc2ce8ed0, v23
	v_cndmask_b32_e64 v3, 0x7fc00000, v3, s2
	v_trunc_f32_e32 v6, v2
	v_cmp_gt_f32_e64 s0, 0, v2
	s_delay_alu instid0(VALU_DEP_3) | instskip(SKIP_1) | instid1(TRANS32_DEP_1)
	v_dual_add_f32 v5, v5, v8 :: v_dual_mul_f32 v26, 0x4f800000, v3
	v_cmp_gt_f32_e64 s2, 0xf800000, v3
	v_ldexp_f32 v4, v4, v10
	s_delay_alu instid0(VALU_DEP_2) | instskip(SKIP_1) | instid1(VALU_DEP_3)
	v_cndmask_b32_e64 v3, v3, v26, s2
	v_mul_f32_e32 v24, 0.5, v2
	v_cndmask_b32_e64 v4, 0, v4, s4
	v_cmp_nlt_f32_e64 s4, 0x42b17218, v23
	s_delay_alu instid0(VALU_DEP_4) | instskip(NEXT) | instid1(VALU_DEP_3)
	v_sqrt_f32_e32 v10, v3
	v_trunc_f32_e32 v15, v24
	s_delay_alu instid0(VALU_DEP_2) | instskip(SKIP_2) | instid1(VALU_DEP_4)
	v_cndmask_b32_e64 v4, 0x7f800000, v4, s4
	v_cmp_eq_f32_e64 s4, v6, v2
	v_cndmask_b32_e64 v2, s18, 1.0, vcc_lo
	v_cmp_neq_f32_e64 s5, v15, v24
	s_delay_alu instid0(VALU_DEP_4) | instskip(NEXT) | instid1(TRANS32_DEP_1)
	v_fma_f32 v5, v4, v5, v4
	v_add_nc_u32_e32 v6, -1, v10
	s_delay_alu instid0(VALU_DEP_3) | instskip(SKIP_2) | instid1(VALU_DEP_3)
	s_and_b32 vcc_lo, s4, s5
	v_cmp_class_f32_e64 s5, v4, 0x204
	v_cndmask_b32_e32 v8, 1.0, v2, vcc_lo
	v_fma_f32 v15, -v6, v10, v3
	s_delay_alu instid0(VALU_DEP_3) | instskip(SKIP_2) | instid1(VALU_DEP_4)
	v_cndmask_b32_e64 v4, v5, v4, s5
	v_add_nc_u32_e32 v5, 1, v10
	v_add_co_u32 v23, s5, v31, v27
	v_cmp_ge_f32_e64 s6, 0, v15
	s_delay_alu instid0(VALU_DEP_4) | instskip(NEXT) | instid1(VALU_DEP_4)
	v_bfi_b32 v4, 0x7fffffff, v4, v8
	v_fma_f32 v8, -v5, v10, v3
	v_add_co_ci_u32_e64 v24, s5, 0, v32, s5
	v_cmp_eq_f32_e64 s5, 0, v2
	v_cndmask_b32_e64 v6, v10, v6, s6
	v_cndmask_b32_e32 v15, 0, v2, vcc_lo
	v_cmp_lt_f32_e32 vcc_lo, 0, v8
	v_cndmask_b32_e64 v25, 0x7fc00000, v4, s4
	s_xor_b32 s0, s0, s5
	v_fma_f32 v8, -v13, v44, 1.0
	v_cndmask_b32_e64 v10, 0x7f800000, 0, s0
	v_cndmask_b32_e32 v5, v6, v5, vcc_lo
	v_cmp_gt_f32_e64 s0, 0, v2
	v_cmp_eq_f32_e32 vcc_lo, 0x7f800000, v1
	v_fmac_f32_e32 v44, v8, v44
	v_bfi_b32 v1, 0x7fffffff, v10, v15
	v_mul_f32_e32 v6, 0x37800000, v5
	v_cndmask_b32_e64 v4, v4, v25, s0
	s_or_b32 vcc_lo, vcc_lo, s5
	v_add_co_u32 v25, s0, v12, v27
	s_delay_alu instid0(VALU_DEP_1) | instskip(NEXT) | instid1(VALU_DEP_3)
	v_add_co_ci_u32_e64 v26, s0, 0, v28, s0
	v_cndmask_b32_e32 v1, v4, v1, vcc_lo
	v_cndmask_b32_e64 v4, v5, v6, s2
	v_cmp_class_f32_e64 vcc_lo, v3, 0x260
	v_add_co_u32 v5, s0, s36, v29
	s_delay_alu instid0(VALU_DEP_4)
	v_sub_f32_e32 v1, 1.0, v1
	v_add_co_ci_u32_e64 v6, null, s37, 0, s0
	v_cndmask_b32_e32 v3, v4, v3, vcc_lo
	v_cmp_o_f32_e32 vcc_lo, v2, v2
	v_fma_f32 v4, -v7, v11, 1.0
	v_or_b32_e32 v29, 32, v22
	v_add_nc_u32_e32 v32, v37, v22
	v_mul_f32_e64 v2, v3, -s22
	v_cndmask_b32_e32 v1, 0x7fc00000, v1, vcc_lo
	v_add_co_u32 v27, vcc_lo, v33, v36
	v_add_co_ci_u32_e32 v28, vcc_lo, 0, v35, vcc_lo
	s_delay_alu instid0(VALU_DEP_3) | instskip(SKIP_2) | instid1(VALU_DEP_3)
	v_div_scale_f32 v10, null, v1, v1, v2
	v_add_co_u32 v33, vcc_lo, v5, v36
	v_add_co_ci_u32_e32 v34, vcc_lo, 0, v6, vcc_lo
	v_rcp_f32_e32 v15, v10
	v_div_scale_f32 v8, vcc_lo, v2, v1, v2
	v_dual_fmac_f32 v11, v4, v11 :: v_dual_add_nc_u32 v36, v37, v29
	v_lshrrev_b32_e32 v4, 5, v30
	v_or_b32_e32 v31, 0x60, v22
	v_lshlrev_b32_e32 v35, 1, v32
	v_cmp_gt_f32_e64 s0, s8, 0
	v_lshlrev_b32_e32 v40, 1, v36
	s_delay_alu instid0(TRANS32_DEP_1) | instskip(SKIP_3) | instid1(VALU_DEP_4)
	v_fma_f32 v5, -v10, v15, 1.0
	v_add_lshl_u32 v41, v4, v30, 1
	v_and_b32_e32 v4, 0x7c, v4
	v_lshrrev_b32_e32 v6, 5, v31
	v_dual_fmac_f32 v15, v5, v15 :: v_dual_lshlrev_b32 v38, 2, v0
	v_bfe_u32 v0, v0, 3, 27
	s_delay_alu instid0(VALU_DEP_3) | instskip(NEXT) | instid1(VALU_DEP_3)
	v_and_b32_e32 v42, 0x7e, v6
	v_dual_mul_f32 v5, v8, v15 :: v_dual_and_b32 v6, 0x7c, v6
	s_delay_alu instid0(VALU_DEP_3) | instskip(SKIP_1) | instid1(VALU_DEP_4)
	v_and_b32_e32 v12, 0x7e, v0
	v_and_b32_e32 v0, 0x7c, v0
	v_add_lshl_u32 v42, v42, v31, 1
	s_delay_alu instid0(VALU_DEP_4) | instskip(NEXT) | instid1(VALU_DEP_4)
	v_fma_f32 v43, -v10, v5, v8
	v_add_lshl_u32 v37, v12, v38, 1
	s_delay_alu instid0(VALU_DEP_4) | instskip(SKIP_1) | instid1(VALU_DEP_4)
	v_add_nc_u32_e32 v38, v0, v38
	v_mul_f32_e32 v0, v14, v11
	v_dual_mul_f32 v12, v9, v44 :: v_dual_fmac_f32 v5, v43, v15
	v_add_nc_u32_e32 v43, v4, v30
	s_delay_alu instid0(VALU_DEP_3) | instskip(NEXT) | instid1(VALU_DEP_3)
	v_fma_f32 v45, -v7, v0, v14
	v_fma_f32 v46, -v13, v12, v9
	s_delay_alu instid0(VALU_DEP_4) | instskip(NEXT) | instid1(VALU_DEP_3)
	v_fma_f32 v4, -v10, v5, v8
	v_fmac_f32_e32 v0, v45, v11
	s_delay_alu instid0(VALU_DEP_3) | instskip(NEXT) | instid1(VALU_DEP_3)
	v_fmac_f32_e32 v12, v46, v44
	v_div_fmas_f32 v4, v4, v15, v5
	s_mov_b32 vcc_lo, s1
	v_mul_f32_e32 v45, s20, v3
	v_fma_f32 v7, -v7, v0, v14
	v_fma_f32 v8, -v13, v12, v9
	v_div_fixup_f32 v1, v4, v1, v2
	s_delay_alu instid0(VALU_DEP_3) | instskip(SKIP_1) | instid1(VALU_DEP_2)
	v_div_fmas_f32 v0, v7, v11, v0
	s_mov_b32 vcc_lo, s3
	v_mul_f32_e32 v48, v1, v16
	v_div_fmas_f32 v5, v8, v44, v12
	v_add_nc_u32_e32 v44, v6, v31
	v_div_fixup_f32 v46, v0, s13, 1.0
	s_mov_b32 s13, 0
                                        ; implicit-def: $vgpr1
	s_delay_alu instid0(VALU_DEP_3)
	v_div_fixup_f32 v47, v5, s16, 1.0
	s_branch .LBB92_12
.LBB92_10:                              ;   in Loop: Header=BB92_12 Depth=1
	s_or_b32 exec_lo, exec_lo, s1
	s_waitcnt lgkmcnt(0)
	s_waitcnt_vscnt null, 0x0
	s_barrier
	buffer_gl0_inv
.LBB92_11:                              ;   in Loop: Header=BB92_12 Depth=1
	s_or_b32 exec_lo, exec_lo, s16
	s_add_i32 s12, s12, s11
	s_sub_i32 s15, s15, s11
	s_cmp_ge_u32 s12, s14
	s_cbranch_scc1 .LBB92_173
.LBB92_12:                              ; =>This Inner Loop Header: Depth=1
	s_lshl_b64 s[6:7], s[12:13], 1
	s_min_u32 s4, s15, 0x1000
	v_add_co_u32 v2, vcc_lo, v27, s6
	v_add_co_ci_u32_e32 v3, vcc_lo, s7, v28, vcc_lo
	v_cmp_gt_u32_e64 s1, s4, v22
	v_mov_b32_e32 v4, 0
	s_delay_alu instid0(VALU_DEP_2)
	s_and_saveexec_b32 s2, s1
	s_cbranch_execz .LBB92_14
; %bb.13:                               ;   in Loop: Header=BB92_12 Depth=1
	global_load_u16 v4, v[2:3], off
.LBB92_14:                              ;   in Loop: Header=BB92_12 Depth=1
	s_or_b32 exec_lo, exec_lo, s2
	v_cmp_gt_u32_e64 s2, s4, v29
	v_dual_mov_b32 v5, 0 :: v_dual_mov_b32 v6, 0
	s_delay_alu instid0(VALU_DEP_2)
	s_and_saveexec_b32 s3, s2
	s_cbranch_execz .LBB92_16
; %bb.15:                               ;   in Loop: Header=BB92_12 Depth=1
	global_load_u16 v6, v[2:3], off offset:64
.LBB92_16:                              ;   in Loop: Header=BB92_12 Depth=1
	s_or_b32 exec_lo, exec_lo, s3
	v_cmp_gt_u32_e64 s3, s4, v30
	s_delay_alu instid0(VALU_DEP_1)
	s_and_saveexec_b32 s5, s3
	s_cbranch_execz .LBB92_18
; %bb.17:                               ;   in Loop: Header=BB92_12 Depth=1
	global_load_u16 v5, v[2:3], off offset:128
.LBB92_18:                              ;   in Loop: Header=BB92_12 Depth=1
	s_or_b32 exec_lo, exec_lo, s5
	v_cmp_gt_u32_e64 s4, s4, v31
	v_mov_b32_e32 v7, 0
	s_delay_alu instid0(VALU_DEP_2)
	s_and_saveexec_b32 s5, s4
	s_cbranch_execz .LBB92_20
; %bb.19:                               ;   in Loop: Header=BB92_12 Depth=1
	global_load_u16 v7, v[2:3], off offset:192
.LBB92_20:                              ;   in Loop: Header=BB92_12 Depth=1
	s_or_b32 exec_lo, exec_lo, s5
	s_waitcnt vmcnt(0)
	ds_store_b16 v35, v4
	ds_store_b16 v40, v6
	;; [unrolled: 1-line block ×4, first 2 shown]
	; wave barrier
	ds_load_b64 v[12:13], v37
	v_add_co_u32 v2, vcc_lo, v23, s12
	v_add_co_ci_u32_e32 v3, vcc_lo, 0, v24, vcc_lo
	v_dual_mov_b32 v4, 0x80 :: v_dual_mov_b32 v5, 0x80
	v_mov_b32_e32 v6, 0x80
	s_waitcnt lgkmcnt(0)
	s_barrier
	buffer_gl0_inv
	s_and_saveexec_b32 s5, s1
	s_cbranch_execnz .LBB92_154
; %bb.21:                               ;   in Loop: Header=BB92_12 Depth=1
	s_or_b32 exec_lo, exec_lo, s5
	v_mov_b32_e32 v7, v4
	s_and_saveexec_b32 s5, s2
	s_cbranch_execnz .LBB92_155
.LBB92_22:                              ;   in Loop: Header=BB92_12 Depth=1
	s_or_b32 exec_lo, exec_lo, s5
	s_and_saveexec_b32 s5, s3
	s_cbranch_execnz .LBB92_156
.LBB92_23:                              ;   in Loop: Header=BB92_12 Depth=1
	s_or_b32 exec_lo, exec_lo, s5
	s_and_saveexec_b32 s5, s4
	s_cbranch_execz .LBB92_25
.LBB92_24:                              ;   in Loop: Header=BB92_12 Depth=1
	global_load_u8 v6, v[2:3], off offset:96
.LBB92_25:                              ;   in Loop: Header=BB92_12 Depth=1
	s_or_b32 exec_lo, exec_lo, s5
	s_waitcnt vmcnt(0)
	ds_store_b8 v32, v5
	ds_store_b8 v36, v7
	;; [unrolled: 1-line block ×4, first 2 shown]
	; wave barrier
	ds_load_u8 v8, v38
	ds_load_u8 v55, v38 offset:1
	ds_load_u8 v53, v38 offset:2
	;; [unrolled: 1-line block ×3, first 2 shown]
	v_add_co_u32 v4, vcc_lo, v25, s12
	v_add_co_ci_u32_e32 v5, vcc_lo, 0, v26, vcc_lo
	v_dual_mov_b32 v6, 0 :: v_dual_mov_b32 v7, 0
	s_waitcnt lgkmcnt(0)
	s_barrier
	buffer_gl0_inv
	s_and_saveexec_b32 s5, s1
	s_cbranch_execnz .LBB92_157
; %bb.26:                               ;   in Loop: Header=BB92_12 Depth=1
	s_or_b32 exec_lo, exec_lo, s5
	s_and_saveexec_b32 s5, s2
	s_cbranch_execnz .LBB92_158
.LBB92_27:                              ;   in Loop: Header=BB92_12 Depth=1
	s_or_b32 exec_lo, exec_lo, s5
	s_and_saveexec_b32 s5, s3
	s_cbranch_execnz .LBB92_159
.LBB92_28:                              ;   in Loop: Header=BB92_12 Depth=1
	s_or_b32 exec_lo, exec_lo, s5
	s_and_saveexec_b32 s5, s4
	s_cbranch_execz .LBB92_30
.LBB92_29:                              ;   in Loop: Header=BB92_12 Depth=1
	global_load_u8 v9, v[4:5], off offset:96
	v_lshrrev_b32_e32 v10, 16, v6
	s_waitcnt vmcnt(0)
	v_lshlrev_b16 v9, 8, v9
	s_delay_alu instid0(VALU_DEP_1) | instskip(NEXT) | instid1(VALU_DEP_1)
	v_or_b32_e32 v9, v10, v9
	v_lshlrev_b32_e32 v9, 16, v9
	s_delay_alu instid0(VALU_DEP_1)
	v_and_or_b32 v6, 0xffff, v6, v9
.LBB92_30:                              ;   in Loop: Header=BB92_12 Depth=1
	s_or_b32 exec_lo, exec_lo, s5
	s_delay_alu instid0(VALU_DEP_1)
	v_lshrrev_b32_e32 v9, 8, v6
	v_lshrrev_b32_e32 v10, 24, v6
	ds_store_b8 v32, v7
	ds_store_b8 v36, v9
	ds_store_b8_d16_hi v43, v6
	ds_store_b8 v44, v10
	; wave barrier
	ds_load_u8 v61, v38
	ds_load_u8 v58, v38 offset:1
	ds_load_u8 v59, v38 offset:2
	;; [unrolled: 1-line block ×3, first 2 shown]
	v_add_co_u32 v6, vcc_lo, v33, s6
	v_add_co_ci_u32_e32 v7, vcc_lo, s7, v34, vcc_lo
	s_waitcnt lgkmcnt(0)
	s_barrier
	buffer_gl0_inv
	s_and_saveexec_b32 s5, s1
	s_cbranch_execnz .LBB92_160
; %bb.31:                               ;   in Loop: Header=BB92_12 Depth=1
	s_or_b32 exec_lo, exec_lo, s5
	s_and_saveexec_b32 s5, s2
	s_cbranch_execnz .LBB92_161
.LBB92_32:                              ;   in Loop: Header=BB92_12 Depth=1
	s_or_b32 exec_lo, exec_lo, s5
	s_and_saveexec_b32 s5, s3
	s_cbranch_execnz .LBB92_162
.LBB92_33:                              ;   in Loop: Header=BB92_12 Depth=1
	s_or_b32 exec_lo, exec_lo, s5
	s_and_saveexec_b32 s5, s4
	s_cbranch_execz .LBB92_35
.LBB92_34:                              ;   in Loop: Header=BB92_12 Depth=1
	global_load_u16 v50, v[6:7], off offset:192
.LBB92_35:                              ;   in Loop: Header=BB92_12 Depth=1
	s_or_b32 exec_lo, exec_lo, s5
	s_waitcnt vmcnt(0)
	ds_store_b16 v35, v0
	ds_store_b16 v40, v51
	ds_store_b16 v41, v1
	ds_store_b16 v42, v50
	; wave barrier
	ds_load_b64 v[0:1], v37
	v_add_nc_u32_e32 v9, s12, v21
	s_mov_b32 s16, exec_lo
	s_waitcnt lgkmcnt(0)
	v_lshrrev_b32_e32 v51, 16, v0
	v_lshrrev_b32_e32 v50, 16, v1
	v_cmpx_ge_u32_e64 s10, v9
	s_cbranch_execz .LBB92_11
; %bb.36:                               ;   in Loop: Header=BB92_12 Depth=1
	s_clause 0x1
	global_load_b32 v57, v19, s[24:25]
	global_load_b32 v56, v19, s[26:27]
	v_dual_mov_b32 v69, -16 :: v_dual_and_b32 v8, 0xff, v8
	v_add_nc_u32_e64 v9, 0x2000, 0
	v_cvt_f32_f16_e32 v10, v12
	s_mov_b32 s7, exec_lo
	s_delay_alu instid0(VALU_DEP_3)
	v_lshlrev_b32_e32 v8, 2, v8
	ds_load_2addr_b32 v[14:15], v9 offset0:64 offset1:191
	v_mul_f32_e32 v62, s9, v10
	ds_load_b32 v8, v8 offset:8448
	s_waitcnt vmcnt(1) lgkmcnt(0)
	v_mul_f32_e32 v8, v8, v57
	s_delay_alu instid0(VALU_DEP_1) | instskip(NEXT) | instid1(VALU_DEP_1)
	v_mul_f32_e32 v52, s18, v8
	v_fmac_f32_e32 v52, v17, v62
	s_delay_alu instid0(VALU_DEP_1) | instskip(NEXT) | instid1(VALU_DEP_1)
	v_mul_f32_e32 v63, v46, v52
	v_cmp_lt_f32_e32 vcc_lo, v15, v63
	v_cndmask_b32_e64 v68, 63, 0xbf, vcc_lo
	v_cndmask_b32_e64 v65, 0, 0x7f, vcc_lo
	v_cndmask_b32_e32 v72, -1.0, v15, vcc_lo
	s_delay_alu instid0(VALU_DEP_3) | instskip(SKIP_4) | instid1(VALU_DEP_1)
	v_lshlrev_b32_e32 v8, 2, v68
	ds_load_b32 v71, v8 offset:8448
	v_or_b32_e32 v8, 0x2100, v8
	s_waitcnt lgkmcnt(0)
	v_cmp_lt_f32_e64 s5, v71, v63
	v_cndmask_b32_e64 v66, 0xffffffe0, 32, s5
	v_cndmask_b32_e64 v70, v65, v68, s5
	;; [unrolled: 1-line block ×3, first 2 shown]
	s_delay_alu instid0(VALU_DEP_3)
	v_lshl_add_u32 v67, v66, 2, v8
	v_add_nc_u32_e64 v8, 0xfc, 0
	v_add_nc_u32_e32 v66, v68, v66
	ds_load_b32 v64, v67
	ds_load_2addr_b32 v[10:11], v20 offset1:1
	ds_load_2addr_stride64_b32 v[8:9], v8 offset0:38 offset1:40
	v_mov_b32_e32 v65, v66
	s_waitcnt lgkmcnt(2)
	v_cmpx_lt_f32_e32 v64, v63
; %bb.37:                               ;   in Loop: Header=BB92_12 Depth=1
	v_cndmask_b32_e64 v65, v15, 1.0, vcc_lo
	v_dual_cndmask_b32 v69, 0x7f, v49 :: v_dual_mov_b32 v70, v66
	v_mov_b32_e32 v72, v64
	s_delay_alu instid0(VALU_DEP_3) | instskip(NEXT) | instid1(VALU_DEP_3)
	v_cndmask_b32_e64 v71, v71, v65, s5
	v_cndmask_b32_e64 v65, v68, v69, s5
	s_delay_alu instid0(VALU_DEP_2)
	v_dual_mov_b32 v69, 16 :: v_dual_mov_b32 v64, v71
; %bb.38:                               ;   in Loop: Header=BB92_12 Depth=1
	s_or_b32 exec_lo, exec_lo, s7
	s_delay_alu instid0(VALU_DEP_1)
	v_lshl_add_u32 v67, v69, 2, v67
	v_dual_mov_b32 v69, -4 :: v_dual_add_nc_u32 v74, v69, v66
	s_mov_b32 s6, exec_lo
	ds_load_b32 v73, v67
	s_waitcnt lgkmcnt(0)
	v_cmp_lt_f32_e32 vcc_lo, v73, v63
	v_cndmask_b32_e64 v68, -8, 8, vcc_lo
	v_cndmask_b32_e32 v70, v70, v74, vcc_lo
	v_cndmask_b32_e32 v72, v72, v73, vcc_lo
	s_delay_alu instid0(VALU_DEP_3)
	v_lshl_add_u32 v71, v68, 2, v67
	v_add_nc_u32_e32 v66, v68, v74
	ds_load_b32 v67, v71
	v_mov_b32_e32 v68, v66
	s_waitcnt lgkmcnt(0)
	v_cmpx_lt_f32_e32 v67, v63
; %bb.39:                               ;   in Loop: Header=BB92_12 Depth=1
	v_dual_cndmask_b32 v64, v73, v64 :: v_dual_mov_b32 v69, 4
	v_cndmask_b32_e32 v68, v74, v65, vcc_lo
	v_mov_b32_e32 v70, v66
	s_delay_alu instid0(VALU_DEP_3)
	v_dual_mov_b32 v72, v67 :: v_dual_mov_b32 v67, v64
; %bb.40:                               ;   in Loop: Header=BB92_12 Depth=1
	s_or_b32 exec_lo, exec_lo, s6
	v_lshl_add_u32 v64, v69, 2, v71
	v_add_nc_u32_e32 v75, v69, v66
	v_mov_b32_e32 v73, -1
	s_mov_b32 s6, exec_lo
	ds_load_b32 v74, v64
	s_waitcnt lgkmcnt(0)
	v_cmp_lt_f32_e32 vcc_lo, v74, v63
	v_cndmask_b32_e64 v71, -2, 2, vcc_lo
	s_delay_alu instid0(VALU_DEP_1)
	v_lshl_add_u32 v64, v71, 2, v64
	v_add_nc_u32_e32 v71, v71, v75
	ds_load_b32 v65, v64
	v_dual_mov_b32 v66, v71 :: v_dual_cndmask_b32 v69, v70, v75
	v_cndmask_b32_e32 v70, v72, v74, vcc_lo
	s_waitcnt lgkmcnt(0)
	v_cmpx_lt_f32_e32 v65, v63
; %bb.41:                               ;   in Loop: Header=BB92_12 Depth=1
	v_dual_cndmask_b32 v67, v74, v67 :: v_dual_cndmask_b32 v66, v75, v68
	v_dual_mov_b32 v73, 1 :: v_dual_mov_b32 v70, v65
	v_mov_b32_e32 v69, v71
	s_delay_alu instid0(VALU_DEP_3)
	v_mov_b32_e32 v65, v67
; %bb.42:                               ;   in Loop: Header=BB92_12 Depth=1
	s_or_b32 exec_lo, exec_lo, s6
	s_delay_alu instid0(VALU_DEP_3)
	v_lshl_add_u32 v64, v73, 2, v64
	v_add_nc_u32_e32 v67, v73, v71
	s_mov_b32 s5, exec_lo
	ds_load_b32 v68, v64
                                        ; implicit-def: $vgpr64
	s_waitcnt lgkmcnt(0)
	v_cmpx_nlt_f32_e32 v68, v63
	s_xor_b32 s5, exec_lo, s5
; %bb.43:                               ;   in Loop: Header=BB92_12 Depth=1
	v_cmp_eq_u32_e32 vcc_lo, 0, v69
                                        ; implicit-def: $vgpr66
                                        ; implicit-def: $vgpr65
	v_cndmask_b32_e32 v64, v70, v14, vcc_lo
	s_delay_alu instid0(VALU_DEP_1) | instskip(NEXT) | instid1(VALU_DEP_1)
	v_add_f32_e32 v64, v68, v64
                                        ; implicit-def: $vgpr68
	v_mul_f32_e32 v64, 0.5, v64
	s_delay_alu instid0(VALU_DEP_1)
	v_cmp_gt_f32_e32 vcc_lo, v64, v63
                                        ; implicit-def: $vgpr63
	v_cndmask_b32_e32 v64, v67, v69, vcc_lo
                                        ; implicit-def: $vgpr67
; %bb.44:                               ;   in Loop: Header=BB92_12 Depth=1
	s_and_not1_saveexec_b32 s5, s5
; %bb.45:                               ;   in Loop: Header=BB92_12 Depth=1
	v_cmp_eq_u32_e32 vcc_lo, 0xff, v66
	v_cndmask_b32_e32 v64, v65, v10, vcc_lo
	s_delay_alu instid0(VALU_DEP_1) | instskip(NEXT) | instid1(VALU_DEP_1)
	v_add_f32_e32 v64, v68, v64
	v_mul_f32_e32 v64, 0.5, v64
	s_delay_alu instid0(VALU_DEP_1)
	v_cmp_lt_f32_e32 vcc_lo, v64, v63
	v_cndmask_b32_e32 v64, v67, v66, vcc_lo
; %bb.46:                               ;   in Loop: Header=BB92_12 Depth=1
	s_or_b32 exec_lo, exec_lo, s5
	s_delay_alu instid0(VALU_DEP_1)
	v_lshlrev_b32_e32 v63, 2, v64
	v_lshlrev_b16 v55, 8, v55
	v_and_b32_e32 v65, 0xff, v64
	v_lshlrev_b16 v60, 8, v60
	v_and_b32_e32 v53, 0xff, v53
	ds_load_b32 v63, v63 offset:8448
	s_mov_b32 s5, exec_lo
	v_or_b32_e32 v55, v65, v55
	v_or_b32_e32 v53, v53, v60
	s_delay_alu instid0(VALU_DEP_2) | instskip(NEXT) | instid1(VALU_DEP_2)
	v_and_b32_e32 v55, 0xffff, v55
	v_lshlrev_b32_e32 v53, 16, v53
	s_delay_alu instid0(VALU_DEP_1) | instskip(SKIP_2) | instid1(VALU_DEP_1)
	v_or_b32_e32 v60, v55, v53
	s_waitcnt lgkmcnt(0)
	v_xor_b32_e32 v63, v63, v52
	v_cmpx_gt_i32_e32 0, v63
	s_cbranch_execz .LBB92_52
; %bb.47:                               ;   in Loop: Header=BB92_12 Depth=1
	s_mov_b32 s6, exec_lo
	v_cmpx_nlt_f32_e32 0, v52
	s_xor_b32 s6, exec_lo, s6
; %bb.48:                               ;   in Loop: Header=BB92_12 Depth=1
	v_add_nc_u16 v53, v64, -1
                                        ; implicit-def: $vgpr64
	s_delay_alu instid0(VALU_DEP_1)
	v_perm_b32 v60, v53, v60, 0x3020104
; %bb.49:                               ;   in Loop: Header=BB92_12 Depth=1
	s_and_not1_saveexec_b32 s6, s6
; %bb.50:                               ;   in Loop: Header=BB92_12 Depth=1
	v_add_nc_u16 v53, v64, 1
	s_delay_alu instid0(VALU_DEP_1)
	v_perm_b32 v60, v53, v60, 0x3020104
; %bb.51:                               ;   in Loop: Header=BB92_12 Depth=1
	s_or_b32 exec_lo, exec_lo, s6
.LBB92_52:                              ;   in Loop: Header=BB92_12 Depth=1
	s_delay_alu instid0(SALU_CYCLE_1) | instskip(SKIP_4) | instid1(VALU_DEP_3)
	s_or_b32 exec_lo, exec_lo, s5
	v_and_b32_e32 v53, 0xff, v61
	v_mul_f32_e32 v61, v18, v62
	v_mov_b32_e32 v65, -16
	s_mov_b32 s7, exec_lo
	v_lshlrev_b32_e32 v53, 2, v53
	ds_load_b32 v53, v53 offset:9472
	s_waitcnt vmcnt(0) lgkmcnt(0)
	v_mul_f32_e32 v53, v53, v56
	s_delay_alu instid0(VALU_DEP_1) | instskip(NEXT) | instid1(VALU_DEP_1)
	v_mul_f32_e32 v55, s19, v53
	v_fmac_f32_e32 v55, v62, v61
	s_delay_alu instid0(VALU_DEP_1) | instskip(NEXT) | instid1(VALU_DEP_1)
	v_mul_f32_e32 v61, v47, v55
	v_cmp_lt_f32_e32 vcc_lo, v8, v61
	v_cndmask_b32_e64 v66, 63, 0xbf, vcc_lo
	v_cndmask_b32_e64 v62, 0, 0x7f, vcc_lo
	v_cndmask_b32_e32 v69, -1.0, v8, vcc_lo
	s_delay_alu instid0(VALU_DEP_3) | instskip(SKIP_4) | instid1(VALU_DEP_1)
	v_lshlrev_b32_e32 v53, 2, v66
	ds_load_b32 v68, v53 offset:9472
	v_or_b32_e32 v53, 0x2500, v53
	s_waitcnt lgkmcnt(0)
	v_cmp_lt_f32_e64 s5, v68, v61
	v_cndmask_b32_e64 v63, 0xffffffe0, 32, s5
	v_cndmask_b32_e64 v67, v62, v66, s5
	;; [unrolled: 1-line block ×3, first 2 shown]
	s_delay_alu instid0(VALU_DEP_3)
	v_lshl_add_u32 v64, v63, 2, v53
	v_add_nc_u32_e32 v63, v66, v63
	ds_load_b32 v53, v64
	v_mov_b32_e32 v62, v63
	s_waitcnt lgkmcnt(0)
	v_cmpx_lt_f32_e32 v53, v61
; %bb.53:                               ;   in Loop: Header=BB92_12 Depth=1
	v_cndmask_b32_e64 v62, v8, 1.0, vcc_lo
	v_cndmask_b32_e32 v65, 0x7f, v49, vcc_lo
	v_mov_b32_e32 v67, v63
	v_mov_b32_e32 v69, v53
	s_delay_alu instid0(VALU_DEP_4) | instskip(NEXT) | instid1(VALU_DEP_4)
	v_cndmask_b32_e64 v68, v68, v62, s5
	v_cndmask_b32_e64 v62, v66, v65, s5
	v_mov_b32_e32 v65, 16
	s_delay_alu instid0(VALU_DEP_3)
	v_mov_b32_e32 v53, v68
; %bb.54:                               ;   in Loop: Header=BB92_12 Depth=1
	s_or_b32 exec_lo, exec_lo, s7
	s_delay_alu instid0(VALU_DEP_2)
	v_lshl_add_u32 v64, v65, 2, v64
	v_add_nc_u32_e32 v71, v65, v63
	s_mov_b32 s6, exec_lo
	ds_load_b32 v70, v64
	s_waitcnt lgkmcnt(0)
	v_cmp_lt_f32_e32 vcc_lo, v70, v61
	v_cndmask_b32_e64 v68, -8, 8, vcc_lo
	v_cndmask_b32_e32 v69, v69, v70, vcc_lo
	s_delay_alu instid0(VALU_DEP_2)
	v_lshl_add_u32 v66, v68, 2, v64
	v_dual_mov_b32 v68, -4 :: v_dual_add_nc_u32 v63, v68, v71
	v_cndmask_b32_e32 v67, v67, v71, vcc_lo
	ds_load_b32 v64, v66
	v_mov_b32_e32 v65, v63
	s_waitcnt lgkmcnt(0)
	v_cmpx_lt_f32_e32 v64, v61
; %bb.55:                               ;   in Loop: Header=BB92_12 Depth=1
	v_dual_cndmask_b32 v53, v70, v53 :: v_dual_mov_b32 v68, 4
	v_cndmask_b32_e32 v65, v71, v62, vcc_lo
	v_mov_b32_e32 v67, v63
	s_delay_alu instid0(VALU_DEP_3)
	v_dual_mov_b32 v69, v64 :: v_dual_mov_b32 v64, v53
; %bb.56:                               ;   in Loop: Header=BB92_12 Depth=1
	s_or_b32 exec_lo, exec_lo, s6
	v_lshl_add_u32 v53, v68, 2, v66
	v_add_nc_u32_e32 v72, v68, v63
	s_mov_b32 s6, exec_lo
	ds_load_b32 v71, v53
	s_waitcnt lgkmcnt(0)
	v_cmp_lt_f32_e32 vcc_lo, v71, v61
	v_cndmask_b32_e64 v66, -2, 2, vcc_lo
	s_delay_alu instid0(VALU_DEP_1)
	v_lshl_add_u32 v53, v66, 2, v53
	v_add_nc_u32_e32 v68, v66, v72
	v_dual_cndmask_b32 v66, v67, v72 :: v_dual_cndmask_b32 v67, v69, v71
	v_mov_b32_e32 v70, -1
	ds_load_b32 v62, v53
	v_mov_b32_e32 v63, v68
	s_waitcnt lgkmcnt(0)
	v_cmpx_lt_f32_e32 v62, v61
; %bb.57:                               ;   in Loop: Header=BB92_12 Depth=1
	v_dual_cndmask_b32 v64, v71, v64 :: v_dual_cndmask_b32 v63, v72, v65
	v_dual_mov_b32 v70, 1 :: v_dual_mov_b32 v67, v62
	v_mov_b32_e32 v66, v68
	s_delay_alu instid0(VALU_DEP_3)
	v_mov_b32_e32 v62, v64
; %bb.58:                               ;   in Loop: Header=BB92_12 Depth=1
	s_or_b32 exec_lo, exec_lo, s6
	s_delay_alu instid0(VALU_DEP_3)
	v_lshl_add_u32 v53, v70, 2, v53
	v_add_nc_u32_e32 v64, v70, v68
	s_mov_b32 s5, exec_lo
	ds_load_b32 v65, v53
                                        ; implicit-def: $vgpr53
	s_waitcnt lgkmcnt(0)
	v_cmpx_nlt_f32_e32 v65, v61
	s_xor_b32 s5, exec_lo, s5
; %bb.59:                               ;   in Loop: Header=BB92_12 Depth=1
	v_cmp_eq_u32_e32 vcc_lo, 0, v66
                                        ; implicit-def: $vgpr63
                                        ; implicit-def: $vgpr62
	v_cndmask_b32_e32 v53, v67, v11, vcc_lo
	s_delay_alu instid0(VALU_DEP_1) | instskip(NEXT) | instid1(VALU_DEP_1)
	v_add_f32_e32 v53, v65, v53
                                        ; implicit-def: $vgpr65
	v_mul_f32_e32 v53, 0.5, v53
	s_delay_alu instid0(VALU_DEP_1)
	v_cmp_gt_f32_e32 vcc_lo, v53, v61
                                        ; implicit-def: $vgpr61
	v_cndmask_b32_e32 v53, v64, v66, vcc_lo
                                        ; implicit-def: $vgpr64
; %bb.60:                               ;   in Loop: Header=BB92_12 Depth=1
	s_and_not1_saveexec_b32 s5, s5
; %bb.61:                               ;   in Loop: Header=BB92_12 Depth=1
	v_cmp_eq_u32_e32 vcc_lo, 0xff, v63
	v_cndmask_b32_e32 v53, v62, v9, vcc_lo
	s_delay_alu instid0(VALU_DEP_1) | instskip(NEXT) | instid1(VALU_DEP_1)
	v_add_f32_e32 v53, v65, v53
	v_mul_f32_e32 v53, 0.5, v53
	s_delay_alu instid0(VALU_DEP_1)
	v_cmp_lt_f32_e32 vcc_lo, v53, v61
	v_cndmask_b32_e32 v53, v64, v63, vcc_lo
; %bb.62:                               ;   in Loop: Header=BB92_12 Depth=1
	s_or_b32 exec_lo, exec_lo, s5
	v_lshrrev_b32_e32 v61, 6, v60
	v_lshrrev_b32_e32 v12, 16, v12
	s_mov_b32 s7, exec_lo
	v_mov_b32_e32 v67, -16
	s_delay_alu instid0(VALU_DEP_3) | instskip(NEXT) | instid1(VALU_DEP_3)
	v_and_b32_e32 v61, 0x3fc, v61
	v_cvt_f32_f16_e32 v12, v12
	ds_load_b32 v61, v61 offset:8448
	s_waitcnt lgkmcnt(0)
	v_dual_mul_f32 v62, v61, v57 :: v_dual_mul_f32 v61, s9, v12
	s_delay_alu instid0(VALU_DEP_1) | instskip(NEXT) | instid1(VALU_DEP_1)
	v_mul_f32_e32 v12, s18, v62
	v_fmac_f32_e32 v12, v17, v61
	s_delay_alu instid0(VALU_DEP_1) | instskip(NEXT) | instid1(VALU_DEP_1)
	v_mul_f32_e32 v62, v46, v12
	v_cmp_lt_f32_e32 vcc_lo, v15, v62
	v_cndmask_b32_e32 v71, -1.0, v15, vcc_lo
	v_cndmask_b32_e64 v68, 63, 0xbf, vcc_lo
	v_cndmask_b32_e64 v64, 0, 0x7f, vcc_lo
	s_delay_alu instid0(VALU_DEP_2) | instskip(SKIP_4) | instid1(VALU_DEP_1)
	v_lshlrev_b32_e32 v63, 2, v68
	ds_load_b32 v70, v63 offset:8448
	v_or_b32_e32 v63, 0x2100, v63
	s_waitcnt lgkmcnt(0)
	v_cmp_lt_f32_e64 s5, v70, v62
	v_cndmask_b32_e64 v66, 0xffffffe0, 32, s5
	v_cndmask_b32_e64 v69, v64, v68, s5
	;; [unrolled: 1-line block ×3, first 2 shown]
	s_delay_alu instid0(VALU_DEP_3)
	v_lshl_add_u32 v65, v66, 2, v63
	v_add_nc_u32_e32 v66, v68, v66
	ds_load_b32 v63, v65
	v_mov_b32_e32 v64, v66
	s_waitcnt lgkmcnt(0)
	v_cmpx_lt_f32_e32 v63, v62
; %bb.63:                               ;   in Loop: Header=BB92_12 Depth=1
	v_cndmask_b32_e64 v64, v15, 1.0, vcc_lo
	v_dual_cndmask_b32 v67, 0x7f, v49 :: v_dual_mov_b32 v72, v63
	v_mov_b32_e32 v69, v66
	s_delay_alu instid0(VALU_DEP_3) | instskip(NEXT) | instid1(VALU_DEP_3)
	v_cndmask_b32_e64 v70, v70, v64, s5
	v_cndmask_b32_e64 v64, v68, v67, s5
	v_mov_b32_e32 v67, 16
	s_delay_alu instid0(VALU_DEP_3)
	v_mov_b32_e32 v63, v70
; %bb.64:                               ;   in Loop: Header=BB92_12 Depth=1
	s_or_b32 exec_lo, exec_lo, s7
	s_delay_alu instid0(VALU_DEP_2)
	v_lshl_add_u32 v65, v67, 2, v65
	v_add_nc_u32_e32 v74, v67, v66
	s_mov_b32 s6, exec_lo
	ds_load_b32 v73, v65
	s_waitcnt lgkmcnt(0)
	v_cmp_lt_f32_e32 vcc_lo, v73, v62
	v_cndmask_b32_e64 v70, -8, 8, vcc_lo
	v_dual_cndmask_b32 v71, v69, v74 :: v_dual_cndmask_b32 v72, v72, v73
	s_delay_alu instid0(VALU_DEP_2)
	v_lshl_add_u32 v68, v70, 2, v65
	v_dual_mov_b32 v70, -4 :: v_dual_add_nc_u32 v67, v70, v74
	ds_load_b32 v65, v68
	v_mov_b32_e32 v66, v67
	s_waitcnt lgkmcnt(0)
	v_cmpx_lt_f32_e32 v65, v62
; %bb.65:                               ;   in Loop: Header=BB92_12 Depth=1
	v_dual_cndmask_b32 v63, v73, v63 :: v_dual_cndmask_b32 v66, v74, v64
	v_dual_mov_b32 v70, 4 :: v_dual_mov_b32 v71, v67
	s_delay_alu instid0(VALU_DEP_2)
	v_dual_mov_b32 v72, v65 :: v_dual_mov_b32 v65, v63
; %bb.66:                               ;   in Loop: Header=BB92_12 Depth=1
	s_or_b32 exec_lo, exec_lo, s6
	s_delay_alu instid0(VALU_DEP_2)
	v_lshl_add_u32 v63, v70, 2, v68
	s_mov_b32 s6, exec_lo
	v_mov_b32_e32 v73, -1
	ds_load_b32 v74, v63
	s_waitcnt lgkmcnt(0)
	v_cmp_lt_f32_e32 vcc_lo, v74, v62
	v_dual_cndmask_b32 v68, v72, v74 :: v_dual_add_nc_u32 v75, v70, v67
	v_cndmask_b32_e64 v64, -2, 2, vcc_lo
	s_delay_alu instid0(VALU_DEP_1) | instskip(NEXT) | instid1(VALU_DEP_3)
	v_lshl_add_u32 v69, v64, 2, v63
	v_add_nc_u32_e32 v70, v64, v75
	v_cndmask_b32_e32 v67, v71, v75, vcc_lo
	ds_load_b32 v63, v69
	v_mov_b32_e32 v64, v70
	s_waitcnt lgkmcnt(0)
	v_cmpx_lt_f32_e32 v63, v62
; %bb.67:                               ;   in Loop: Header=BB92_12 Depth=1
	v_dual_cndmask_b32 v65, v74, v65 :: v_dual_cndmask_b32 v64, v75, v66
	v_dual_mov_b32 v73, 1 :: v_dual_mov_b32 v68, v63
	v_mov_b32_e32 v67, v70
	s_delay_alu instid0(VALU_DEP_3)
	v_mov_b32_e32 v63, v65
; %bb.68:                               ;   in Loop: Header=BB92_12 Depth=1
	s_or_b32 exec_lo, exec_lo, s6
	s_delay_alu instid0(VALU_DEP_3)
	v_lshl_add_u32 v65, v73, 2, v69
	v_add_nc_u32_e32 v66, v73, v70
	s_mov_b32 s5, exec_lo
	ds_load_b32 v69, v65
                                        ; implicit-def: $vgpr65
	s_waitcnt lgkmcnt(0)
	v_cmpx_nlt_f32_e32 v69, v62
	s_xor_b32 s5, exec_lo, s5
; %bb.69:                               ;   in Loop: Header=BB92_12 Depth=1
	v_cmp_eq_u32_e32 vcc_lo, 0, v67
                                        ; implicit-def: $vgpr64
	v_cndmask_b32_e32 v63, v68, v14, vcc_lo
	s_delay_alu instid0(VALU_DEP_1) | instskip(NEXT) | instid1(VALU_DEP_1)
	v_add_f32_e32 v63, v69, v63
                                        ; implicit-def: $vgpr69
	v_mul_f32_e32 v63, 0.5, v63
	s_delay_alu instid0(VALU_DEP_1)
	v_cmp_gt_f32_e32 vcc_lo, v63, v62
                                        ; implicit-def: $vgpr63
                                        ; implicit-def: $vgpr62
	v_cndmask_b32_e32 v65, v66, v67, vcc_lo
                                        ; implicit-def: $vgpr66
; %bb.70:                               ;   in Loop: Header=BB92_12 Depth=1
	s_and_not1_saveexec_b32 s5, s5
; %bb.71:                               ;   in Loop: Header=BB92_12 Depth=1
	v_cmp_eq_u32_e32 vcc_lo, 0xff, v64
	v_cndmask_b32_e32 v63, v63, v10, vcc_lo
	s_delay_alu instid0(VALU_DEP_1) | instskip(NEXT) | instid1(VALU_DEP_1)
	v_add_f32_e32 v63, v69, v63
	v_mul_f32_e32 v63, 0.5, v63
	s_delay_alu instid0(VALU_DEP_1)
	v_cmp_lt_f32_e32 vcc_lo, v63, v62
	v_cndmask_b32_e32 v65, v66, v64, vcc_lo
; %bb.72:                               ;   in Loop: Header=BB92_12 Depth=1
	s_or_b32 exec_lo, exec_lo, s5
	s_delay_alu instid0(VALU_DEP_1)
	v_lshlrev_b32_e32 v62, 2, v65
	s_mov_b32 s5, exec_lo
	ds_load_b32 v62, v62 offset:8448
	s_waitcnt lgkmcnt(0)
	v_xor_b32_e32 v63, v62, v12
	v_perm_b32 v62, v60, v65, 0x7060004
	s_delay_alu instid0(VALU_DEP_2)
	v_cmpx_gt_i32_e32 0, v63
	s_cbranch_execz .LBB92_78
; %bb.73:                               ;   in Loop: Header=BB92_12 Depth=1
	v_lshlrev_b16 v60, 8, v65
	s_delay_alu instid0(VALU_DEP_3)
	v_and_b32_e32 v63, 0xff, v62
	s_mov_b32 s6, exec_lo
	v_cmpx_nlt_f32_e32 0, v12
	s_xor_b32 s6, exec_lo, s6
; %bb.74:                               ;   in Loop: Header=BB92_12 Depth=1
	s_delay_alu instid0(VALU_DEP_2) | instskip(NEXT) | instid1(VALU_DEP_1)
	v_or_b32_e32 v60, v60, v63
                                        ; implicit-def: $vgpr63
	v_add_nc_u16 v60, v60, 0xff00
	s_delay_alu instid0(VALU_DEP_1) | instskip(NEXT) | instid1(VALU_DEP_1)
	v_and_b32_e32 v60, 0xffff, v60
	v_and_or_b32 v62, 0xffff0000, v62, v60
                                        ; implicit-def: $vgpr60
; %bb.75:                               ;   in Loop: Header=BB92_12 Depth=1
	s_and_not1_saveexec_b32 s6, s6
; %bb.76:                               ;   in Loop: Header=BB92_12 Depth=1
	v_or_b32_e32 v60, v60, v63
	s_delay_alu instid0(VALU_DEP_1) | instskip(NEXT) | instid1(VALU_DEP_1)
	v_add_nc_u16 v60, v60, 0x100
	v_and_b32_e32 v60, 0xffff, v60
	s_delay_alu instid0(VALU_DEP_1)
	v_and_or_b32 v62, 0xffff0000, v62, v60
; %bb.77:                               ;   in Loop: Header=BB92_12 Depth=1
	s_or_b32 exec_lo, exec_lo, s6
.LBB92_78:                              ;   in Loop: Header=BB92_12 Depth=1
	s_delay_alu instid0(SALU_CYCLE_1) | instskip(SKIP_3) | instid1(VALU_DEP_2)
	s_or_b32 exec_lo, exec_lo, s5
	v_dual_mul_f32 v63, v18, v61 :: v_dual_and_b32 v58, 0xff, v58
	v_mov_b32_e32 v66, -16
	s_mov_b32 s7, exec_lo
	v_lshlrev_b32_e32 v58, 2, v58
	ds_load_b32 v58, v58 offset:9472
	s_waitcnt lgkmcnt(0)
	v_mul_f32_e32 v58, v58, v56
	s_delay_alu instid0(VALU_DEP_1) | instskip(NEXT) | instid1(VALU_DEP_1)
	v_mul_f32_e32 v60, s19, v58
	v_fmac_f32_e32 v60, v61, v63
	s_delay_alu instid0(VALU_DEP_1) | instskip(NEXT) | instid1(VALU_DEP_1)
	v_mul_f32_e32 v61, v47, v60
	v_cmp_lt_f32_e32 vcc_lo, v8, v61
	v_cndmask_b32_e64 v67, 63, 0xbf, vcc_lo
	v_cndmask_b32_e64 v63, 0, 0x7f, vcc_lo
	v_cndmask_b32_e32 v70, -1.0, v8, vcc_lo
	s_delay_alu instid0(VALU_DEP_3) | instskip(SKIP_4) | instid1(VALU_DEP_1)
	v_lshlrev_b32_e32 v58, 2, v67
	ds_load_b32 v69, v58 offset:9472
	v_or_b32_e32 v58, 0x2500, v58
	s_waitcnt lgkmcnt(0)
	v_cmp_lt_f32_e64 s5, v69, v61
	v_cndmask_b32_e64 v64, 0xffffffe0, 32, s5
	v_cndmask_b32_e64 v68, v63, v67, s5
	;; [unrolled: 1-line block ×3, first 2 shown]
	s_delay_alu instid0(VALU_DEP_3)
	v_lshl_add_u32 v65, v64, 2, v58
	v_add_nc_u32_e32 v64, v67, v64
	ds_load_b32 v58, v65
	v_mov_b32_e32 v63, v64
	s_waitcnt lgkmcnt(0)
	v_cmpx_lt_f32_e32 v58, v61
; %bb.79:                               ;   in Loop: Header=BB92_12 Depth=1
	v_cndmask_b32_e64 v63, v8, 1.0, vcc_lo
	v_cndmask_b32_e32 v66, 0x7f, v49, vcc_lo
	v_mov_b32_e32 v68, v64
	v_mov_b32_e32 v70, v58
	s_delay_alu instid0(VALU_DEP_4) | instskip(NEXT) | instid1(VALU_DEP_4)
	v_cndmask_b32_e64 v69, v69, v63, s5
	v_cndmask_b32_e64 v63, v67, v66, s5
	v_mov_b32_e32 v66, 16
	s_delay_alu instid0(VALU_DEP_3)
	v_mov_b32_e32 v58, v69
; %bb.80:                               ;   in Loop: Header=BB92_12 Depth=1
	s_or_b32 exec_lo, exec_lo, s7
	s_delay_alu instid0(VALU_DEP_2)
	v_lshl_add_u32 v65, v66, 2, v65
	v_add_nc_u32_e32 v72, v66, v64
	s_mov_b32 s6, exec_lo
	ds_load_b32 v71, v65
	s_waitcnt lgkmcnt(0)
	v_cmp_lt_f32_e32 vcc_lo, v71, v61
	v_cndmask_b32_e64 v69, -8, 8, vcc_lo
	v_cndmask_b32_e32 v70, v70, v71, vcc_lo
	s_delay_alu instid0(VALU_DEP_2)
	v_lshl_add_u32 v67, v69, 2, v65
	v_dual_mov_b32 v69, -4 :: v_dual_add_nc_u32 v64, v69, v72
	v_cndmask_b32_e32 v68, v68, v72, vcc_lo
	ds_load_b32 v65, v67
	v_mov_b32_e32 v66, v64
	s_waitcnt lgkmcnt(0)
	v_cmpx_lt_f32_e32 v65, v61
; %bb.81:                               ;   in Loop: Header=BB92_12 Depth=1
	v_dual_cndmask_b32 v58, v71, v58 :: v_dual_mov_b32 v69, 4
	v_cndmask_b32_e32 v66, v72, v63, vcc_lo
	v_mov_b32_e32 v68, v64
	s_delay_alu instid0(VALU_DEP_3)
	v_dual_mov_b32 v70, v65 :: v_dual_mov_b32 v65, v58
; %bb.82:                               ;   in Loop: Header=BB92_12 Depth=1
	s_or_b32 exec_lo, exec_lo, s6
	v_lshl_add_u32 v58, v69, 2, v67
	v_add_nc_u32_e32 v73, v69, v64
	s_mov_b32 s6, exec_lo
	ds_load_b32 v72, v58
	s_waitcnt lgkmcnt(0)
	v_cmp_lt_f32_e32 vcc_lo, v72, v61
	v_cndmask_b32_e64 v67, -2, 2, vcc_lo
	s_delay_alu instid0(VALU_DEP_1)
	v_lshl_add_u32 v58, v67, 2, v58
	v_add_nc_u32_e32 v69, v67, v73
	v_dual_cndmask_b32 v67, v68, v73 :: v_dual_cndmask_b32 v68, v70, v72
	v_mov_b32_e32 v71, -1
	ds_load_b32 v63, v58
	v_mov_b32_e32 v64, v69
	s_waitcnt lgkmcnt(0)
	v_cmpx_lt_f32_e32 v63, v61
; %bb.83:                               ;   in Loop: Header=BB92_12 Depth=1
	v_dual_cndmask_b32 v65, v72, v65 :: v_dual_cndmask_b32 v64, v73, v66
	v_dual_mov_b32 v71, 1 :: v_dual_mov_b32 v68, v63
	v_mov_b32_e32 v67, v69
	s_delay_alu instid0(VALU_DEP_3)
	v_mov_b32_e32 v63, v65
; %bb.84:                               ;   in Loop: Header=BB92_12 Depth=1
	s_or_b32 exec_lo, exec_lo, s6
	s_delay_alu instid0(VALU_DEP_3)
	v_lshl_add_u32 v58, v71, 2, v58
	v_add_nc_u32_e32 v65, v71, v69
	s_mov_b32 s5, exec_lo
	ds_load_b32 v66, v58
                                        ; implicit-def: $vgpr58
	s_waitcnt lgkmcnt(0)
	v_cmpx_nlt_f32_e32 v66, v61
	s_xor_b32 s5, exec_lo, s5
; %bb.85:                               ;   in Loop: Header=BB92_12 Depth=1
	v_cmp_eq_u32_e32 vcc_lo, 0, v67
                                        ; implicit-def: $vgpr64
                                        ; implicit-def: $vgpr63
	v_cndmask_b32_e32 v58, v68, v11, vcc_lo
	s_delay_alu instid0(VALU_DEP_1) | instskip(NEXT) | instid1(VALU_DEP_1)
	v_add_f32_e32 v58, v66, v58
                                        ; implicit-def: $vgpr66
	v_mul_f32_e32 v58, 0.5, v58
	s_delay_alu instid0(VALU_DEP_1)
	v_cmp_gt_f32_e32 vcc_lo, v58, v61
                                        ; implicit-def: $vgpr61
	v_cndmask_b32_e32 v58, v65, v67, vcc_lo
                                        ; implicit-def: $vgpr65
; %bb.86:                               ;   in Loop: Header=BB92_12 Depth=1
	s_and_not1_saveexec_b32 s5, s5
; %bb.87:                               ;   in Loop: Header=BB92_12 Depth=1
	v_cmp_eq_u32_e32 vcc_lo, 0xff, v64
	v_cndmask_b32_e32 v58, v63, v9, vcc_lo
	s_delay_alu instid0(VALU_DEP_1) | instskip(NEXT) | instid1(VALU_DEP_1)
	v_add_f32_e32 v58, v66, v58
	v_mul_f32_e32 v58, 0.5, v58
	s_delay_alu instid0(VALU_DEP_1)
	v_cmp_lt_f32_e32 vcc_lo, v58, v61
	v_cndmask_b32_e32 v58, v65, v64, vcc_lo
; %bb.88:                               ;   in Loop: Header=BB92_12 Depth=1
	s_or_b32 exec_lo, exec_lo, s5
	v_lshrrev_b32_e32 v61, 14, v62
	v_cvt_f32_f16_e32 v63, v13
	v_mov_b32_e32 v69, -16
	s_mov_b32 s7, exec_lo
	s_delay_alu instid0(VALU_DEP_2) | instskip(SKIP_3) | instid1(VALU_DEP_1)
	v_dual_mul_f32 v64, s9, v63 :: v_dual_and_b32 v61, 0x3fc, v61
	ds_load_b32 v61, v61 offset:8448
	s_waitcnt lgkmcnt(0)
	v_mul_f32_e32 v61, v61, v57
	v_mul_f32_e32 v61, s18, v61
	s_delay_alu instid0(VALU_DEP_1) | instskip(NEXT) | instid1(VALU_DEP_1)
	v_fmac_f32_e32 v61, v17, v64
	v_mul_f32_e32 v63, v46, v61
	s_delay_alu instid0(VALU_DEP_1) | instskip(SKIP_3) | instid1(VALU_DEP_3)
	v_cmp_lt_f32_e32 vcc_lo, v15, v63
	v_cndmask_b32_e64 v70, 63, 0xbf, vcc_lo
	v_cndmask_b32_e64 v66, 0, 0x7f, vcc_lo
	v_cndmask_b32_e32 v73, -1.0, v15, vcc_lo
	v_lshlrev_b32_e32 v65, 2, v70
	ds_load_b32 v72, v65 offset:8448
	v_or_b32_e32 v65, 0x2100, v65
	s_waitcnt lgkmcnt(0)
	v_cmp_lt_f32_e64 s5, v72, v63
	s_delay_alu instid0(VALU_DEP_1) | instskip(SKIP_2) | instid1(VALU_DEP_3)
	v_cndmask_b32_e64 v67, 0xffffffe0, 32, s5
	v_cndmask_b32_e64 v71, v66, v70, s5
	;; [unrolled: 1-line block ×3, first 2 shown]
	v_lshl_add_u32 v68, v67, 2, v65
	v_add_nc_u32_e32 v67, v70, v67
	ds_load_b32 v65, v68
	v_mov_b32_e32 v66, v67
	s_waitcnt lgkmcnt(0)
	v_cmpx_lt_f32_e32 v65, v63
; %bb.89:                               ;   in Loop: Header=BB92_12 Depth=1
	v_cndmask_b32_e64 v66, v15, 1.0, vcc_lo
	v_cndmask_b32_e32 v69, 0x7f, v49, vcc_lo
	v_mov_b32_e32 v71, v67
	v_mov_b32_e32 v73, v65
	s_delay_alu instid0(VALU_DEP_4) | instskip(NEXT) | instid1(VALU_DEP_4)
	v_cndmask_b32_e64 v72, v72, v66, s5
	v_cndmask_b32_e64 v66, v70, v69, s5
	v_mov_b32_e32 v69, 16
	s_delay_alu instid0(VALU_DEP_3)
	v_mov_b32_e32 v65, v72
; %bb.90:                               ;   in Loop: Header=BB92_12 Depth=1
	s_or_b32 exec_lo, exec_lo, s7
	s_delay_alu instid0(VALU_DEP_2)
	v_lshl_add_u32 v68, v69, 2, v68
	v_add_nc_u32_e32 v75, v69, v67
	s_mov_b32 s6, exec_lo
	ds_load_b32 v74, v68
	s_waitcnt lgkmcnt(0)
	v_cmp_lt_f32_e32 vcc_lo, v74, v63
	v_cndmask_b32_e64 v72, -8, 8, vcc_lo
	v_cndmask_b32_e32 v73, v73, v74, vcc_lo
	s_delay_alu instid0(VALU_DEP_2)
	v_lshl_add_u32 v70, v72, 2, v68
	v_dual_mov_b32 v72, -4 :: v_dual_add_nc_u32 v67, v72, v75
	v_cndmask_b32_e32 v71, v71, v75, vcc_lo
	ds_load_b32 v68, v70
	v_mov_b32_e32 v69, v67
	s_waitcnt lgkmcnt(0)
	v_cmpx_lt_f32_e32 v68, v63
; %bb.91:                               ;   in Loop: Header=BB92_12 Depth=1
	v_dual_cndmask_b32 v65, v74, v65 :: v_dual_mov_b32 v72, 4
	v_cndmask_b32_e32 v69, v75, v66, vcc_lo
	v_mov_b32_e32 v71, v67
	s_delay_alu instid0(VALU_DEP_3)
	v_dual_mov_b32 v73, v68 :: v_dual_mov_b32 v68, v65
; %bb.92:                               ;   in Loop: Header=BB92_12 Depth=1
	s_or_b32 exec_lo, exec_lo, s6
	v_lshl_add_u32 v65, v72, 2, v70
	v_add_nc_u32_e32 v76, v72, v67
	s_mov_b32 s6, exec_lo
	ds_load_b32 v75, v65
	s_waitcnt lgkmcnt(0)
	v_cmp_lt_f32_e32 vcc_lo, v75, v63
	v_cndmask_b32_e64 v70, -2, 2, vcc_lo
	s_delay_alu instid0(VALU_DEP_1)
	v_lshl_add_u32 v65, v70, 2, v65
	v_add_nc_u32_e32 v72, v70, v76
	v_dual_cndmask_b32 v70, v71, v76 :: v_dual_cndmask_b32 v71, v73, v75
	v_mov_b32_e32 v74, -1
	ds_load_b32 v66, v65
	v_mov_b32_e32 v67, v72
	s_waitcnt lgkmcnt(0)
	v_cmpx_lt_f32_e32 v66, v63
; %bb.93:                               ;   in Loop: Header=BB92_12 Depth=1
	v_dual_cndmask_b32 v68, v75, v68 :: v_dual_cndmask_b32 v67, v76, v69
	v_dual_mov_b32 v74, 1 :: v_dual_mov_b32 v71, v66
	v_mov_b32_e32 v70, v72
	s_delay_alu instid0(VALU_DEP_3)
	v_mov_b32_e32 v66, v68
; %bb.94:                               ;   in Loop: Header=BB92_12 Depth=1
	s_or_b32 exec_lo, exec_lo, s6
	s_delay_alu instid0(VALU_DEP_3)
	v_lshl_add_u32 v65, v74, 2, v65
	v_add_nc_u32_e32 v68, v74, v72
	s_mov_b32 s5, exec_lo
	ds_load_b32 v69, v65
                                        ; implicit-def: $vgpr65
	s_waitcnt lgkmcnt(0)
	v_cmpx_nlt_f32_e32 v69, v63
	s_xor_b32 s5, exec_lo, s5
; %bb.95:                               ;   in Loop: Header=BB92_12 Depth=1
	v_cmp_eq_u32_e32 vcc_lo, 0, v70
                                        ; implicit-def: $vgpr67
                                        ; implicit-def: $vgpr66
	v_cndmask_b32_e32 v65, v71, v14, vcc_lo
	s_delay_alu instid0(VALU_DEP_1) | instskip(NEXT) | instid1(VALU_DEP_1)
	v_add_f32_e32 v65, v69, v65
                                        ; implicit-def: $vgpr69
	v_mul_f32_e32 v65, 0.5, v65
	s_delay_alu instid0(VALU_DEP_1)
	v_cmp_gt_f32_e32 vcc_lo, v65, v63
                                        ; implicit-def: $vgpr63
	v_cndmask_b32_e32 v65, v68, v70, vcc_lo
                                        ; implicit-def: $vgpr68
; %bb.96:                               ;   in Loop: Header=BB92_12 Depth=1
	s_and_not1_saveexec_b32 s5, s5
; %bb.97:                               ;   in Loop: Header=BB92_12 Depth=1
	v_cmp_eq_u32_e32 vcc_lo, 0xff, v67
	v_cndmask_b32_e32 v65, v66, v10, vcc_lo
	s_delay_alu instid0(VALU_DEP_1) | instskip(NEXT) | instid1(VALU_DEP_1)
	v_add_f32_e32 v65, v69, v65
	v_mul_f32_e32 v65, 0.5, v65
	s_delay_alu instid0(VALU_DEP_1)
	v_cmp_lt_f32_e32 vcc_lo, v65, v63
	v_cndmask_b32_e32 v65, v68, v67, vcc_lo
; %bb.98:                               ;   in Loop: Header=BB92_12 Depth=1
	s_or_b32 exec_lo, exec_lo, s5
	s_delay_alu instid0(VALU_DEP_1)
	v_lshlrev_b32_e32 v63, 2, v65
	s_mov_b32 s5, exec_lo
	ds_load_b32 v63, v63 offset:8448
	s_waitcnt lgkmcnt(0)
	v_xor_b32_e32 v66, v63, v61
	v_perm_b32 v63, v62, v65, 0x7000504
	s_delay_alu instid0(VALU_DEP_2)
	v_cmpx_gt_i32_e32 0, v66
	s_cbranch_execz .LBB92_104
; %bb.99:                               ;   in Loop: Header=BB92_12 Depth=1
	s_mov_b32 s6, exec_lo
	v_cmpx_nlt_f32_e32 0, v61
	s_xor_b32 s6, exec_lo, s6
; %bb.100:                              ;   in Loop: Header=BB92_12 Depth=1
	v_add_nc_u16 v62, v65, -1
                                        ; implicit-def: $vgpr65
	s_delay_alu instid0(VALU_DEP_1)
	v_perm_b32 v63, v63, v62, 0x7000504
; %bb.101:                              ;   in Loop: Header=BB92_12 Depth=1
	s_and_not1_saveexec_b32 s6, s6
; %bb.102:                              ;   in Loop: Header=BB92_12 Depth=1
	v_add_nc_u16 v62, v65, 1
	s_delay_alu instid0(VALU_DEP_1)
	v_perm_b32 v63, v63, v62, 0x7000504
; %bb.103:                              ;   in Loop: Header=BB92_12 Depth=1
	s_or_b32 exec_lo, exec_lo, s6
.LBB92_104:                             ;   in Loop: Header=BB92_12 Depth=1
	s_delay_alu instid0(SALU_CYCLE_1) | instskip(SKIP_3) | instid1(VALU_DEP_1)
	s_or_b32 exec_lo, exec_lo, s5
	v_mul_f32_e32 v65, v18, v64
	v_and_b32_e32 v59, 0xff, v59
	s_mov_b32 s7, exec_lo
	v_lshlrev_b32_e32 v59, 2, v59
	ds_load_b32 v59, v59 offset:9472
	s_waitcnt lgkmcnt(0)
	v_mul_f32_e32 v59, v59, v56
	s_delay_alu instid0(VALU_DEP_1) | instskip(NEXT) | instid1(VALU_DEP_1)
	v_mul_f32_e32 v62, s19, v59
	v_fmac_f32_e32 v62, v64, v65
	s_delay_alu instid0(VALU_DEP_1) | instskip(NEXT) | instid1(VALU_DEP_1)
	v_mul_f32_e32 v64, v47, v62
	v_cmp_lt_f32_e32 vcc_lo, v8, v64
	v_cndmask_b32_e64 v69, 63, 0xbf, vcc_lo
	v_cndmask_b32_e64 v65, 0, 0x7f, vcc_lo
	s_delay_alu instid0(VALU_DEP_2) | instskip(SKIP_4) | instid1(VALU_DEP_1)
	v_dual_cndmask_b32 v72, -1.0, v8 :: v_dual_lshlrev_b32 v59, 2, v69
	ds_load_b32 v71, v59 offset:9472
	v_or_b32_e32 v59, 0x2500, v59
	s_waitcnt lgkmcnt(0)
	v_cmp_lt_f32_e64 s5, v71, v64
	v_cndmask_b32_e64 v66, 0xffffffe0, 32, s5
	v_cndmask_b32_e64 v70, v65, v69, s5
	;; [unrolled: 1-line block ×3, first 2 shown]
	s_delay_alu instid0(VALU_DEP_3)
	v_lshl_add_u32 v67, v66, 2, v59
	v_add_nc_u32_e32 v66, v69, v66
	v_mov_b32_e32 v68, -16
	ds_load_b32 v59, v67
	v_mov_b32_e32 v65, v66
	s_waitcnt lgkmcnt(0)
	v_cmpx_lt_f32_e32 v59, v64
; %bb.105:                              ;   in Loop: Header=BB92_12 Depth=1
	v_cndmask_b32_e64 v65, v8, 1.0, vcc_lo
	v_mov_b32_e32 v70, v66
	v_mov_b32_e32 v72, v59
	s_delay_alu instid0(VALU_DEP_3) | instskip(NEXT) | instid1(VALU_DEP_1)
	v_cndmask_b32_e64 v71, v71, v65, s5
	v_dual_cndmask_b32 v68, 0x7f, v49 :: v_dual_mov_b32 v59, v71
	s_delay_alu instid0(VALU_DEP_1)
	v_cndmask_b32_e64 v65, v69, v68, s5
	v_mov_b32_e32 v68, 16
; %bb.106:                              ;   in Loop: Header=BB92_12 Depth=1
	s_or_b32 exec_lo, exec_lo, s7
	s_delay_alu instid0(VALU_DEP_1)
	v_lshl_add_u32 v67, v68, 2, v67
	v_add_nc_u32_e32 v74, v68, v66
	s_mov_b32 s6, exec_lo
	ds_load_b32 v73, v67
	s_waitcnt lgkmcnt(0)
	v_cmp_lt_f32_e32 vcc_lo, v73, v64
	v_cndmask_b32_e64 v71, -8, 8, vcc_lo
	v_cndmask_b32_e32 v72, v72, v73, vcc_lo
	s_delay_alu instid0(VALU_DEP_2)
	v_lshl_add_u32 v69, v71, 2, v67
	v_dual_mov_b32 v71, -4 :: v_dual_add_nc_u32 v66, v71, v74
	v_cndmask_b32_e32 v70, v70, v74, vcc_lo
	ds_load_b32 v67, v69
	v_mov_b32_e32 v68, v66
	s_waitcnt lgkmcnt(0)
	v_cmpx_lt_f32_e32 v67, v64
; %bb.107:                              ;   in Loop: Header=BB92_12 Depth=1
	v_dual_cndmask_b32 v59, v73, v59 :: v_dual_cndmask_b32 v68, v74, v65
	v_dual_mov_b32 v71, 4 :: v_dual_mov_b32 v70, v66
	v_mov_b32_e32 v72, v67
	s_delay_alu instid0(VALU_DEP_3)
	v_mov_b32_e32 v67, v59
; %bb.108:                              ;   in Loop: Header=BB92_12 Depth=1
	s_or_b32 exec_lo, exec_lo, s6
	s_delay_alu instid0(VALU_DEP_3)
	v_lshl_add_u32 v59, v71, 2, v69
	v_add_nc_u32_e32 v75, v71, v66
	s_mov_b32 s6, exec_lo
	ds_load_b32 v74, v59
	s_waitcnt lgkmcnt(0)
	v_cmp_lt_f32_e32 vcc_lo, v74, v64
	v_cndmask_b32_e64 v69, -2, 2, vcc_lo
	s_delay_alu instid0(VALU_DEP_1)
	v_lshl_add_u32 v59, v69, 2, v59
	v_add_nc_u32_e32 v71, v69, v75
	v_dual_cndmask_b32 v69, v70, v75 :: v_dual_cndmask_b32 v70, v72, v74
	v_mov_b32_e32 v73, -1
	ds_load_b32 v65, v59
	v_mov_b32_e32 v66, v71
	s_waitcnt lgkmcnt(0)
	v_cmpx_lt_f32_e32 v65, v64
; %bb.109:                              ;   in Loop: Header=BB92_12 Depth=1
	v_dual_cndmask_b32 v67, v74, v67 :: v_dual_cndmask_b32 v66, v75, v68
	v_dual_mov_b32 v73, 1 :: v_dual_mov_b32 v70, v65
	v_mov_b32_e32 v69, v71
	s_delay_alu instid0(VALU_DEP_3)
	v_mov_b32_e32 v65, v67
; %bb.110:                              ;   in Loop: Header=BB92_12 Depth=1
	s_or_b32 exec_lo, exec_lo, s6
	s_delay_alu instid0(VALU_DEP_3)
	v_lshl_add_u32 v59, v73, 2, v59
	v_add_nc_u32_e32 v67, v73, v71
	s_mov_b32 s5, exec_lo
	ds_load_b32 v68, v59
                                        ; implicit-def: $vgpr59
	s_waitcnt lgkmcnt(0)
	v_cmpx_nlt_f32_e32 v68, v64
	s_xor_b32 s5, exec_lo, s5
; %bb.111:                              ;   in Loop: Header=BB92_12 Depth=1
	v_cmp_eq_u32_e32 vcc_lo, 0, v69
                                        ; implicit-def: $vgpr66
                                        ; implicit-def: $vgpr65
	v_cndmask_b32_e32 v59, v70, v11, vcc_lo
	s_delay_alu instid0(VALU_DEP_1) | instskip(NEXT) | instid1(VALU_DEP_1)
	v_add_f32_e32 v59, v68, v59
                                        ; implicit-def: $vgpr68
	v_mul_f32_e32 v59, 0.5, v59
	s_delay_alu instid0(VALU_DEP_1)
	v_cmp_gt_f32_e32 vcc_lo, v59, v64
                                        ; implicit-def: $vgpr64
	v_cndmask_b32_e32 v59, v67, v69, vcc_lo
                                        ; implicit-def: $vgpr67
; %bb.112:                              ;   in Loop: Header=BB92_12 Depth=1
	s_and_not1_saveexec_b32 s5, s5
; %bb.113:                              ;   in Loop: Header=BB92_12 Depth=1
	v_cmp_eq_u32_e32 vcc_lo, 0xff, v66
	v_cndmask_b32_e32 v59, v65, v9, vcc_lo
	s_delay_alu instid0(VALU_DEP_1) | instskip(NEXT) | instid1(VALU_DEP_1)
	v_add_f32_e32 v59, v68, v59
	v_mul_f32_e32 v59, 0.5, v59
	s_delay_alu instid0(VALU_DEP_1)
	v_cmp_lt_f32_e32 vcc_lo, v59, v64
	v_cndmask_b32_e32 v59, v67, v66, vcc_lo
; %bb.114:                              ;   in Loop: Header=BB92_12 Depth=1
	s_or_b32 exec_lo, exec_lo, s5
	v_lshrrev_b32_e32 v64, 22, v63
	v_lshrrev_b32_e32 v13, 16, v13
	v_mov_b32_e32 v69, -16
	s_mov_b32 s7, exec_lo
	s_delay_alu instid0(VALU_DEP_2)
	v_cvt_f32_f16_e32 v13, v13
	v_and_b32_e32 v64, 0x3fc, v64
	ds_load_b32 v64, v64 offset:8448
	s_waitcnt lgkmcnt(0)
	v_mul_f32_e32 v64, v64, v57
	v_mul_f32_e32 v57, s9, v13
	s_delay_alu instid0(VALU_DEP_2) | instskip(NEXT) | instid1(VALU_DEP_1)
	v_mul_f32_e32 v13, s18, v64
	v_fmac_f32_e32 v13, v17, v57
	s_delay_alu instid0(VALU_DEP_1) | instskip(NEXT) | instid1(VALU_DEP_1)
	v_mul_f32_e32 v64, v46, v13
	v_cmp_lt_f32_e32 vcc_lo, v15, v64
	v_cndmask_b32_e32 v73, -1.0, v15, vcc_lo
	v_cndmask_b32_e64 v71, 63, 0xbf, vcc_lo
	v_cndmask_b32_e64 v67, 0, 0x7f, vcc_lo
	s_delay_alu instid0(VALU_DEP_2) | instskip(SKIP_4) | instid1(VALU_DEP_1)
	v_lshlrev_b32_e32 v65, 2, v71
	ds_load_b32 v72, v65 offset:8448
	v_or_b32_e32 v65, 0x2100, v65
	s_waitcnt lgkmcnt(0)
	v_cmp_lt_f32_e64 s5, v72, v64
	v_cndmask_b32_e64 v68, 0xffffffe0, 32, s5
	v_cndmask_b32_e64 v70, v67, v71, s5
	;; [unrolled: 1-line block ×3, first 2 shown]
	s_delay_alu instid0(VALU_DEP_3)
	v_lshl_add_u32 v66, v68, 2, v65
	v_add_nc_u32_e32 v68, v71, v68
	ds_load_b32 v65, v66
	v_mov_b32_e32 v67, v68
	s_waitcnt lgkmcnt(0)
	v_cmpx_lt_f32_e32 v65, v64
; %bb.115:                              ;   in Loop: Header=BB92_12 Depth=1
	v_cndmask_b32_e64 v15, v15, 1.0, vcc_lo
	v_dual_cndmask_b32 v67, 0x7f, v49 :: v_dual_mov_b32 v70, v68
	v_mov_b32_e32 v69, 16
	v_mov_b32_e32 v73, v65
	s_delay_alu instid0(VALU_DEP_4) | instskip(NEXT) | instid1(VALU_DEP_4)
	v_cndmask_b32_e64 v15, v72, v15, s5
	v_cndmask_b32_e64 v67, v71, v67, s5
	s_delay_alu instid0(VALU_DEP_2)
	v_mov_b32_e32 v65, v15
; %bb.116:                              ;   in Loop: Header=BB92_12 Depth=1
	s_or_b32 exec_lo, exec_lo, s7
	v_lshl_add_u32 v15, v69, 2, v66
	v_add_nc_u32_e32 v75, v69, v68
	s_mov_b32 s6, exec_lo
	ds_load_b32 v74, v15
	s_waitcnt lgkmcnt(0)
	v_cmp_lt_f32_e32 vcc_lo, v74, v64
	v_cndmask_b32_e64 v71, -8, 8, vcc_lo
	v_dual_cndmask_b32 v73, v73, v74 :: v_dual_cndmask_b32 v72, v70, v75
	s_delay_alu instid0(VALU_DEP_2)
	v_lshl_add_u32 v15, v71, 2, v15
	v_add_nc_u32_e32 v69, v71, v75
	v_mov_b32_e32 v71, -4
	ds_load_b32 v66, v15
	v_mov_b32_e32 v68, v69
	s_waitcnt lgkmcnt(0)
	v_cmpx_lt_f32_e32 v66, v64
; %bb.117:                              ;   in Loop: Header=BB92_12 Depth=1
	v_dual_cndmask_b32 v65, v74, v65 :: v_dual_cndmask_b32 v68, v75, v67
	v_dual_mov_b32 v71, 4 :: v_dual_mov_b32 v72, v69
	s_delay_alu instid0(VALU_DEP_2)
	v_dual_mov_b32 v73, v66 :: v_dual_mov_b32 v66, v65
; %bb.118:                              ;   in Loop: Header=BB92_12 Depth=1
	s_or_b32 exec_lo, exec_lo, s6
	s_delay_alu instid0(VALU_DEP_2)
	v_lshl_add_u32 v15, v71, 2, v15
	s_mov_b32 s6, exec_lo
	v_mov_b32_e32 v74, -1
	ds_load_b32 v75, v15
	s_waitcnt lgkmcnt(0)
	v_cmp_lt_f32_e32 vcc_lo, v75, v64
	v_dual_cndmask_b32 v69, v73, v75 :: v_dual_add_nc_u32 v76, v71, v69
	v_cndmask_b32_e64 v65, -2, 2, vcc_lo
	s_delay_alu instid0(VALU_DEP_2) | instskip(NEXT) | instid1(VALU_DEP_2)
	v_cndmask_b32_e32 v67, v72, v76, vcc_lo
	v_lshl_add_u32 v70, v65, 2, v15
	v_add_nc_u32_e32 v71, v65, v76
	ds_load_b32 v15, v70
	v_mov_b32_e32 v65, v71
	s_waitcnt lgkmcnt(0)
	v_cmpx_lt_f32_e32 v15, v64
; %bb.119:                              ;   in Loop: Header=BB92_12 Depth=1
	v_dual_cndmask_b32 v66, v75, v66 :: v_dual_cndmask_b32 v65, v76, v68
	v_dual_mov_b32 v74, 1 :: v_dual_mov_b32 v67, v71
	v_mov_b32_e32 v69, v15
	s_delay_alu instid0(VALU_DEP_3)
	v_mov_b32_e32 v15, v66
; %bb.120:                              ;   in Loop: Header=BB92_12 Depth=1
	s_or_b32 exec_lo, exec_lo, s6
	s_delay_alu instid0(VALU_DEP_3)
	v_lshl_add_u32 v66, v74, 2, v70
	v_add_nc_u32_e32 v68, v74, v71
	s_mov_b32 s5, exec_lo
	ds_load_b32 v70, v66
                                        ; implicit-def: $vgpr66
	s_waitcnt lgkmcnt(0)
	v_cmpx_nlt_f32_e32 v70, v64
	s_xor_b32 s5, exec_lo, s5
; %bb.121:                              ;   in Loop: Header=BB92_12 Depth=1
	v_cmp_eq_u32_e32 vcc_lo, 0, v67
                                        ; implicit-def: $vgpr65
                                        ; implicit-def: $vgpr15
	v_cndmask_b32_e32 v14, v69, v14, vcc_lo
	s_delay_alu instid0(VALU_DEP_1) | instskip(NEXT) | instid1(VALU_DEP_1)
	v_add_f32_e32 v14, v70, v14
                                        ; implicit-def: $vgpr70
	v_mul_f32_e32 v14, 0.5, v14
	s_delay_alu instid0(VALU_DEP_1)
	v_cmp_gt_f32_e32 vcc_lo, v14, v64
                                        ; implicit-def: $vgpr64
	v_cndmask_b32_e32 v66, v68, v67, vcc_lo
                                        ; implicit-def: $vgpr68
; %bb.122:                              ;   in Loop: Header=BB92_12 Depth=1
	s_and_not1_saveexec_b32 s5, s5
; %bb.123:                              ;   in Loop: Header=BB92_12 Depth=1
	v_cmp_eq_u32_e32 vcc_lo, 0xff, v65
	v_cndmask_b32_e32 v10, v15, v10, vcc_lo
	s_delay_alu instid0(VALU_DEP_1) | instskip(NEXT) | instid1(VALU_DEP_1)
	v_add_f32_e32 v10, v70, v10
	v_mul_f32_e32 v10, 0.5, v10
	s_delay_alu instid0(VALU_DEP_1)
	v_cmp_lt_f32_e32 vcc_lo, v10, v64
	v_cndmask_b32_e32 v66, v68, v65, vcc_lo
; %bb.124:                              ;   in Loop: Header=BB92_12 Depth=1
	s_or_b32 exec_lo, exec_lo, s5
	s_delay_alu instid0(VALU_DEP_1)
	v_lshlrev_b32_e32 v10, 2, v66
	s_mov_b32 s5, exec_lo
	ds_load_b32 v10, v10 offset:8448
	s_waitcnt lgkmcnt(0)
	v_xor_b32_e32 v14, v10, v13
	v_perm_b32 v10, v63, v66, 0x60504
	s_delay_alu instid0(VALU_DEP_2)
	v_cmpx_gt_i32_e32 0, v14
	s_cbranch_execz .LBB92_130
; %bb.125:                              ;   in Loop: Header=BB92_12 Depth=1
	s_delay_alu instid0(VALU_DEP_2) | instskip(SKIP_2) | instid1(VALU_DEP_2)
	v_lshrrev_b32_e32 v15, 16, v10
	v_lshlrev_b16 v14, 8, v66
	s_mov_b32 s6, exec_lo
	v_and_b32_e32 v15, 0xff, v15
	v_cmpx_nlt_f32_e32 0, v13
	s_xor_b32 s6, exec_lo, s6
; %bb.126:                              ;   in Loop: Header=BB92_12 Depth=1
	s_delay_alu instid0(VALU_DEP_2) | instskip(NEXT) | instid1(VALU_DEP_1)
	v_or_b32_e32 v14, v14, v15
                                        ; implicit-def: $vgpr15
	v_add_nc_u16 v14, v14, 0xff00
	s_delay_alu instid0(VALU_DEP_1) | instskip(NEXT) | instid1(VALU_DEP_1)
	v_lshlrev_b32_e32 v14, 16, v14
	v_and_or_b32 v10, 0xffff, v10, v14
                                        ; implicit-def: $vgpr14
; %bb.127:                              ;   in Loop: Header=BB92_12 Depth=1
	s_and_not1_saveexec_b32 s6, s6
; %bb.128:                              ;   in Loop: Header=BB92_12 Depth=1
	v_or_b32_e32 v14, v14, v15
	s_delay_alu instid0(VALU_DEP_1) | instskip(NEXT) | instid1(VALU_DEP_1)
	v_add_nc_u16 v14, v14, 0x100
	v_lshlrev_b32_e32 v14, 16, v14
	s_delay_alu instid0(VALU_DEP_1)
	v_and_or_b32 v10, 0xffff, v10, v14
; %bb.129:                              ;   in Loop: Header=BB92_12 Depth=1
	s_or_b32 exec_lo, exec_lo, s6
.LBB92_130:                             ;   in Loop: Header=BB92_12 Depth=1
	s_delay_alu instid0(SALU_CYCLE_1) | instskip(SKIP_3) | instid1(VALU_DEP_2)
	s_or_b32 exec_lo, exec_lo, s5
	v_and_b32_e32 v14, 0xff, v54
	v_mul_f32_e32 v54, v18, v57
	s_mov_b32 s7, exec_lo
	v_dual_mov_b32 v65, -16 :: v_dual_lshlrev_b32 v14, 2, v14
	ds_load_b32 v14, v14 offset:9472
	s_waitcnt lgkmcnt(0)
	v_mul_f32_e32 v14, v14, v56
	s_delay_alu instid0(VALU_DEP_1) | instskip(NEXT) | instid1(VALU_DEP_1)
	v_mul_f32_e32 v15, s19, v14
	v_fmac_f32_e32 v15, v57, v54
	s_delay_alu instid0(VALU_DEP_1) | instskip(NEXT) | instid1(VALU_DEP_1)
	v_mul_f32_e32 v54, v47, v15
	v_cmp_lt_f32_e32 vcc_lo, v8, v54
	v_cndmask_b32_e64 v64, 63, 0xbf, vcc_lo
	v_cndmask_b32_e64 v56, 0, 0x7f, vcc_lo
	v_cndmask_b32_e32 v67, -1.0, v8, vcc_lo
	s_delay_alu instid0(VALU_DEP_3) | instskip(SKIP_4) | instid1(VALU_DEP_1)
	v_lshlrev_b32_e32 v14, 2, v64
	ds_load_b32 v68, v14 offset:9472
	v_or_b32_e32 v14, 0x2500, v14
	s_waitcnt lgkmcnt(0)
	v_cmp_lt_f32_e64 s5, v68, v54
	v_cndmask_b32_e64 v57, 0xffffffe0, 32, s5
	v_cndmask_b32_e64 v66, v56, v64, s5
	v_cndmask_b32_e64 v67, v67, v68, s5
	s_delay_alu instid0(VALU_DEP_3)
	v_lshl_add_u32 v63, v57, 2, v14
	v_add_nc_u32_e32 v57, v64, v57
	ds_load_b32 v14, v63
	v_mov_b32_e32 v56, v57
	s_waitcnt lgkmcnt(0)
	v_cmpx_lt_f32_e32 v14, v54
; %bb.131:                              ;   in Loop: Header=BB92_12 Depth=1
	v_cndmask_b32_e64 v8, v8, 1.0, vcc_lo
	v_dual_cndmask_b32 v56, 0x7f, v49 :: v_dual_mov_b32 v65, 16
	v_dual_mov_b32 v66, v57 :: v_dual_mov_b32 v67, v14
	s_delay_alu instid0(VALU_DEP_3) | instskip(NEXT) | instid1(VALU_DEP_3)
	v_cndmask_b32_e64 v8, v68, v8, s5
	v_cndmask_b32_e64 v56, v64, v56, s5
	s_delay_alu instid0(VALU_DEP_2)
	v_mov_b32_e32 v14, v8
; %bb.132:                              ;   in Loop: Header=BB92_12 Depth=1
	s_or_b32 exec_lo, exec_lo, s7
	v_lshl_add_u32 v8, v65, 2, v63
	v_dual_mov_b32 v65, -4 :: v_dual_add_nc_u32 v70, v65, v57
	s_mov_b32 s6, exec_lo
	ds_load_b32 v69, v8
	s_waitcnt lgkmcnt(0)
	v_cmp_lt_f32_e32 vcc_lo, v69, v54
	v_cndmask_b32_e64 v63, -8, 8, vcc_lo
	v_cndmask_b32_e32 v68, v67, v69, vcc_lo
	s_delay_alu instid0(VALU_DEP_2)
	v_lshl_add_u32 v64, v63, 2, v8
	v_add_nc_u32_e32 v57, v63, v70
	v_cndmask_b32_e32 v66, v66, v70, vcc_lo
	ds_load_b32 v8, v64
	v_mov_b32_e32 v63, v57
	s_waitcnt lgkmcnt(0)
	v_cmpx_lt_f32_e32 v8, v54
; %bb.133:                              ;   in Loop: Header=BB92_12 Depth=1
	v_dual_cndmask_b32 v14, v69, v14 :: v_dual_cndmask_b32 v63, v70, v56
	v_dual_mov_b32 v65, 4 :: v_dual_mov_b32 v66, v57
	v_mov_b32_e32 v68, v8
	s_delay_alu instid0(VALU_DEP_3)
	v_mov_b32_e32 v8, v14
; %bb.134:                              ;   in Loop: Header=BB92_12 Depth=1
	s_or_b32 exec_lo, exec_lo, s6
	s_delay_alu instid0(VALU_DEP_3)
	v_lshl_add_u32 v14, v65, 2, v64
	v_add_nc_u32_e32 v71, v65, v57
	s_mov_b32 s6, exec_lo
	ds_load_b32 v70, v14
	s_waitcnt lgkmcnt(0)
	v_cmp_lt_f32_e32 vcc_lo, v70, v54
	v_mov_b32_e32 v69, -1
	v_cndmask_b32_e64 v64, -2, 2, vcc_lo
	v_cndmask_b32_e32 v65, v68, v70, vcc_lo
	s_delay_alu instid0(VALU_DEP_2)
	v_lshl_add_u32 v14, v64, 2, v14
	v_add_nc_u32_e32 v67, v64, v71
	v_cndmask_b32_e32 v64, v66, v71, vcc_lo
	ds_load_b32 v56, v14
	v_mov_b32_e32 v57, v67
	s_waitcnt lgkmcnt(0)
	v_cmpx_lt_f32_e32 v56, v54
; %bb.135:                              ;   in Loop: Header=BB92_12 Depth=1
	v_dual_cndmask_b32 v8, v70, v8 :: v_dual_cndmask_b32 v57, v71, v63
	v_dual_mov_b32 v69, 1 :: v_dual_mov_b32 v64, v67
	v_mov_b32_e32 v65, v56
	s_delay_alu instid0(VALU_DEP_3)
	v_mov_b32_e32 v56, v8
; %bb.136:                              ;   in Loop: Header=BB92_12 Depth=1
	s_or_b32 exec_lo, exec_lo, s6
	s_delay_alu instid0(VALU_DEP_3)
	v_lshl_add_u32 v8, v69, 2, v14
	s_mov_b32 s5, exec_lo
                                        ; implicit-def: $vgpr14
	ds_load_b32 v63, v8
	v_add_nc_u32_e32 v8, v69, v67
	s_waitcnt lgkmcnt(0)
	v_cmpx_nlt_f32_e32 v63, v54
	s_xor_b32 s5, exec_lo, s5
; %bb.137:                              ;   in Loop: Header=BB92_12 Depth=1
	v_cmp_eq_u32_e32 vcc_lo, 0, v64
                                        ; implicit-def: $vgpr57
                                        ; implicit-def: $vgpr56
	v_cndmask_b32_e32 v9, v65, v11, vcc_lo
	s_delay_alu instid0(VALU_DEP_1) | instskip(NEXT) | instid1(VALU_DEP_1)
	v_add_f32_e32 v9, v63, v9
                                        ; implicit-def: $vgpr63
	v_mul_f32_e32 v9, 0.5, v9
	s_delay_alu instid0(VALU_DEP_1)
	v_cmp_gt_f32_e32 vcc_lo, v9, v54
                                        ; implicit-def: $vgpr54
	v_cndmask_b32_e32 v14, v8, v64, vcc_lo
                                        ; implicit-def: $vgpr8_vgpr9
                                        ; implicit-def: $vgpr8
; %bb.138:                              ;   in Loop: Header=BB92_12 Depth=1
	s_and_not1_saveexec_b32 s5, s5
; %bb.139:                              ;   in Loop: Header=BB92_12 Depth=1
	v_cmp_eq_u32_e32 vcc_lo, 0xff, v57
	v_cndmask_b32_e32 v9, v56, v9, vcc_lo
	s_delay_alu instid0(VALU_DEP_1) | instskip(NEXT) | instid1(VALU_DEP_1)
	v_add_f32_e32 v9, v63, v9
	v_mul_f32_e32 v9, 0.5, v9
	s_delay_alu instid0(VALU_DEP_1)
	v_cmp_lt_f32_e32 vcc_lo, v9, v54
	v_cndmask_b32_e32 v14, v8, v57, vcc_lo
; %bb.140:                              ;   in Loop: Header=BB92_12 Depth=1
	s_or_b32 exec_lo, exec_lo, s5
	v_dual_mul_f32 v8, 0x4f800000, v55 :: v_dual_mul_f32 v9, 0x4f800000, v60
	v_cmp_gt_f32_e64 s5, 0xf800000, v60
	v_dual_mul_f32 v11, 0x4f800000, v62 :: v_dual_mul_f32 v54, 0x4f800000, v15
	v_cmp_gt_f32_e64 s7, 0xf800000, v15
	v_cmp_gt_f32_e32 vcc_lo, 0xf800000, v55
	s_delay_alu instid0(VALU_DEP_4) | instskip(SKIP_1) | instid1(VALU_DEP_4)
	v_cndmask_b32_e64 v9, v60, v9, s5
	v_cmp_gt_f32_e64 s6, 0xf800000, v62
	v_cndmask_b32_e64 v15, v15, v54, s7
	s_delay_alu instid0(VALU_DEP_3) | instskip(SKIP_1) | instid1(VALU_DEP_3)
	v_sqrt_f32_e32 v54, v9
	v_cndmask_b32_e32 v8, v55, v8, vcc_lo
	v_cndmask_b32_e64 v11, v62, v11, s6
	s_delay_alu instid0(VALU_DEP_3) | instskip(NEXT) | instid1(VALU_DEP_1)
	v_sqrt_f32_e32 v57, v15
	v_sqrt_f32_e32 v56, v11
	s_delay_alu instid0(TRANS32_DEP_3) | instskip(SKIP_1) | instid1(TRANS32_DEP_3)
	v_add_nc_u32_e32 v63, -1, v54
	v_sqrt_f32_e32 v55, v8
	v_add_nc_u32_e32 v67, -1, v57
	v_add_nc_u32_e32 v64, 1, v54
	s_delay_alu instid0(VALU_DEP_3) | instskip(NEXT) | instid1(VALU_DEP_3)
	v_fma_f32 v71, -v63, v54, v9
	v_fma_f32 v73, -v67, v57, v15
	s_delay_alu instid0(VALU_DEP_3) | instskip(SKIP_3) | instid1(VALU_DEP_2)
	v_fma_f32 v72, -v64, v54, v9
	s_waitcnt_depctr 0xfff
	v_add_nc_u32_e32 v60, -1, v55
	v_add_nc_u32_e32 v62, 1, v55
	v_fma_f32 v68, -v60, v55, v8
	s_delay_alu instid0(VALU_DEP_2) | instskip(NEXT) | instid1(VALU_DEP_2)
	v_fma_f32 v70, -v62, v55, v8
	v_cmp_ge_f32_e64 s8, 0, v68
	s_delay_alu instid0(VALU_DEP_1) | instskip(NEXT) | instid1(VALU_DEP_3)
	v_cndmask_b32_e64 v55, v55, v60, s8
	v_cmp_lt_f32_e64 s8, 0, v70
	s_delay_alu instid0(VALU_DEP_1) | instskip(SKIP_2) | instid1(VALU_DEP_2)
	v_cndmask_b32_e64 v55, v55, v62, s8
	v_add_nc_u32_e32 v65, -1, v56
	v_cmp_ge_f32_e64 s8, 0, v71
	v_fma_f32 v60, -v65, v56, v11
	s_delay_alu instid0(VALU_DEP_2) | instskip(NEXT) | instid1(VALU_DEP_2)
	v_cndmask_b32_e64 v54, v54, v63, s8
	v_cmp_ge_f32_e64 s8, 0, v60
	v_mul_f32_e32 v60, 0x37800000, v55
	s_delay_alu instid0(VALU_DEP_1) | instskip(SKIP_2) | instid1(VALU_DEP_2)
	v_cndmask_b32_e32 v55, v55, v60, vcc_lo
	v_add_nc_u32_e32 v69, 1, v57
	v_cmp_ge_f32_e32 vcc_lo, 0, v73
	v_fma_f32 v62, -v69, v57, v15
	v_cndmask_b32_e32 v57, v57, v67, vcc_lo
	v_cmp_class_f32_e64 vcc_lo, v8, 0x260
	v_cndmask_b32_e32 v8, v55, v8, vcc_lo
	s_delay_alu instid0(VALU_DEP_4) | instskip(NEXT) | instid1(VALU_DEP_4)
	v_cmp_lt_f32_e32 vcc_lo, 0, v62
	v_dual_cndmask_b32 v57, v57, v69 :: v_dual_add_nc_u32 v66, 1, v56
	s_delay_alu instid0(VALU_DEP_1) | instskip(SKIP_3) | instid1(VALU_DEP_2)
	v_fma_f32 v68, -v66, v56, v11
	v_cndmask_b32_e64 v56, v56, v65, s8
	v_cmp_lt_f32_e64 s8, 0, v72
	v_cmp_class_f32_e64 vcc_lo, v9, 0x260
	v_cndmask_b32_e64 v54, v54, v64, s8
	v_cmp_lt_f32_e64 s8, 0, v68
	s_delay_alu instid0(VALU_DEP_2) | instskip(NEXT) | instid1(VALU_DEP_2)
	v_mul_f32_e32 v60, 0x37800000, v54
	v_cndmask_b32_e64 v56, v56, v66, s8
	s_delay_alu instid0(VALU_DEP_2) | instskip(NEXT) | instid1(VALU_DEP_2)
	v_cndmask_b32_e64 v54, v54, v60, s5
	v_mul_f32_e32 v55, 0x37800000, v56
	s_delay_alu instid0(VALU_DEP_2) | instskip(NEXT) | instid1(VALU_DEP_2)
	v_dual_add_f32 v8, v45, v8 :: v_dual_cndmask_b32 v9, v54, v9
	v_cndmask_b32_e64 v55, v56, v55, s6
	s_delay_alu instid0(VALU_DEP_2) | instskip(SKIP_1) | instid1(VALU_DEP_3)
	v_div_scale_f32 v54, null, v8, v8, v52
	v_cmp_class_f32_e64 vcc_lo, v11, 0x260
	v_dual_mul_f32 v56, 0x37800000, v57 :: v_dual_cndmask_b32 v11, v55, v11
	s_delay_alu instid0(VALU_DEP_3) | instskip(NEXT) | instid1(VALU_DEP_1)
	v_rcp_f32_e32 v55, v54
	v_cndmask_b32_e64 v56, v57, v56, s7
	v_cmp_class_f32_e64 vcc_lo, v15, 0x260
	s_delay_alu instid0(VALU_DEP_2) | instskip(SKIP_2) | instid1(VALU_DEP_1)
	v_cndmask_b32_e32 v15, v56, v15, vcc_lo
	s_waitcnt_depctr 0xfff
	v_fma_f32 v62, -v54, v55, 1.0
	v_fmac_f32_e32 v55, v62, v55
	v_div_scale_f32 v62, vcc_lo, v52, v8, v52
	s_delay_alu instid0(VALU_DEP_1) | instskip(NEXT) | instid1(VALU_DEP_1)
	v_dual_add_f32 v9, v45, v9 :: v_dual_mul_f32 v68, v62, v55
	v_div_scale_f32 v57, null, v9, v9, v12
	s_delay_alu instid0(VALU_DEP_2) | instskip(NEXT) | instid1(VALU_DEP_2)
	v_fma_f32 v70, -v54, v68, v62
	v_rcp_f32_e32 v60, v57
	s_waitcnt_depctr 0xfff
	v_fma_f32 v65, -v57, v60, 1.0
	s_delay_alu instid0(VALU_DEP_1) | instskip(SKIP_2) | instid1(VALU_DEP_2)
	v_fmac_f32_e32 v60, v65, v60
	v_add_f32_e32 v15, v45, v15
	v_div_scale_f32 v65, s5, v12, v9, v12
	v_div_scale_f32 v64, null, v15, v15, v13
	s_delay_alu instid0(VALU_DEP_1) | instskip(SKIP_2) | instid1(VALU_DEP_1)
	v_rcp_f32_e32 v66, v64
	s_waitcnt_depctr 0xfff
	v_fma_f32 v69, -v64, v66, 1.0
	v_fmac_f32_e32 v66, v69, v66
	v_div_scale_f32 v69, s7, v13, v15, v13
	v_fmac_f32_e32 v68, v70, v55
	s_delay_alu instid0(VALU_DEP_2) | instskip(NEXT) | instid1(VALU_DEP_2)
	v_mul_f32_e32 v74, v69, v66
	v_fma_f32 v54, -v54, v68, v62
	s_delay_alu instid0(VALU_DEP_2) | instskip(SKIP_1) | instid1(VALU_DEP_3)
	v_fma_f32 v62, -v64, v74, v69
	v_add_f32_e32 v11, v45, v11
	v_div_fmas_f32 v54, v54, v55, v68
	s_mov_b32 vcc_lo, s5
	s_delay_alu instid0(VALU_DEP_3) | instskip(NEXT) | instid1(VALU_DEP_3)
	v_fmac_f32_e32 v74, v62, v66
	v_div_scale_f32 v56, null, v11, v11, v61
	s_delay_alu instid0(VALU_DEP_3) | instskip(NEXT) | instid1(VALU_DEP_2)
	v_div_fixup_f32 v8, v54, v8, v52
	v_rcp_f32_e32 v63, v56
	s_delay_alu instid0(VALU_DEP_1) | instskip(SKIP_2) | instid1(VALU_DEP_1)
	v_fma_mixlo_f16 v0, v48, v8, v0 op_sel_hi:[0,0,1]
	s_waitcnt_depctr 0xfff
	v_fma_f32 v67, -v56, v63, 1.0
	v_fmac_f32_e32 v63, v67, v63
	v_div_scale_f32 v67, s6, v61, v11, v61
	s_delay_alu instid0(VALU_DEP_1) | instskip(NEXT) | instid1(VALU_DEP_1)
	v_dual_mul_f32 v71, v65, v60 :: v_dual_mul_f32 v72, v67, v63
	v_fma_f32 v70, -v57, v71, v65
	s_delay_alu instid0(VALU_DEP_2) | instskip(NEXT) | instid1(VALU_DEP_1)
	v_fma_f32 v73, -v56, v72, v67
	v_dual_fmac_f32 v71, v70, v60 :: v_dual_fmac_f32 v72, v73, v63
	s_delay_alu instid0(VALU_DEP_1) | instskip(SKIP_1) | instid1(VALU_DEP_3)
	v_fma_f32 v55, -v57, v71, v65
	v_fma_f32 v57, -v64, v74, v69
	;; [unrolled: 1-line block ×3, first 2 shown]
	s_delay_alu instid0(VALU_DEP_3) | instskip(SKIP_1) | instid1(VALU_DEP_2)
	v_div_fmas_f32 v55, v55, v60, v71
	s_mov_b32 vcc_lo, s6
	v_div_fmas_f32 v56, v56, v63, v72
	s_mov_b32 vcc_lo, s7
	s_delay_alu instid0(VALU_DEP_2) | instskip(SKIP_1) | instid1(VALU_DEP_3)
	v_div_fixup_f32 v9, v55, v9, v12
	v_div_fmas_f32 v57, v57, v66, v74
	v_div_fixup_f32 v11, v56, v11, v61
	s_delay_alu instid0(VALU_DEP_3) | instskip(NEXT) | instid1(VALU_DEP_3)
	v_fma_mixlo_f16 v8, v48, v9, v51 op_sel_hi:[0,0,1]
	v_div_fixup_f32 v12, v57, v15, v13
	s_delay_alu instid0(VALU_DEP_3) | instskip(SKIP_1) | instid1(VALU_DEP_3)
	v_fma_mixlo_f16 v1, v48, v11, v1 op_sel_hi:[0,0,1]
	v_cvt_f32_f16_e32 v11, v0
	v_fma_mixlo_f16 v9, v48, v12, v50 op_sel_hi:[0,0,1]
	v_cvt_f32_f16_e32 v12, v8
	s_delay_alu instid0(VALU_DEP_4) | instskip(NEXT) | instid1(VALU_DEP_4)
	v_cvt_f32_f16_e32 v13, v1
	v_mul_f32_e32 v11, v16, v11
	s_delay_alu instid0(VALU_DEP_4) | instskip(NEXT) | instid1(VALU_DEP_4)
	v_cvt_f32_f16_e32 v15, v9
	v_mul_f32_e32 v12, v16, v12
	s_delay_alu instid0(VALU_DEP_4) | instskip(NEXT) | instid1(VALU_DEP_4)
	v_mul_f32_e32 v13, v16, v13
	v_fma_mixlo_f16 v11, v39, v11, 0
	s_delay_alu instid0(VALU_DEP_4) | instskip(NEXT) | instid1(VALU_DEP_4)
	v_mul_f32_e32 v15, v16, v15
	v_fma_mixlo_f16 v12, v39, v12, 0
	s_delay_alu instid0(VALU_DEP_4) | instskip(NEXT) | instid1(VALU_DEP_4)
	v_fma_mixlo_f16 v13, v39, v13, 0
	v_cndmask_b32_e64 v0, v0, v11, s0
	s_delay_alu instid0(VALU_DEP_4) | instskip(NEXT) | instid1(VALU_DEP_4)
	v_fma_mixlo_f16 v15, v39, v15, 0
	v_cndmask_b32_e64 v8, v8, v12, s0
	s_delay_alu instid0(VALU_DEP_4) | instskip(NEXT) | instid1(VALU_DEP_3)
	v_cndmask_b32_e64 v1, v1, v13, s0
	v_cndmask_b32_e64 v9, v9, v15, s0
	s_delay_alu instid0(VALU_DEP_3) | instskip(NEXT) | instid1(VALU_DEP_2)
	v_pack_b32_f16 v0, v0, v8
	v_pack_b32_f16 v1, v1, v9
	ds_store_b64 v37, v[0:1]
	; wave barrier
	ds_load_u16 v0, v35
	ds_load_u16 v51, v40
	;; [unrolled: 1-line block ×4, first 2 shown]
	s_and_saveexec_b32 s5, s1
	s_cbranch_execnz .LBB92_163
; %bb.141:                              ;   in Loop: Header=BB92_12 Depth=1
	s_or_b32 exec_lo, exec_lo, s5
	s_and_saveexec_b32 s5, s2
	s_cbranch_execnz .LBB92_164
.LBB92_142:                             ;   in Loop: Header=BB92_12 Depth=1
	s_or_b32 exec_lo, exec_lo, s5
	s_and_saveexec_b32 s5, s3
	s_cbranch_execnz .LBB92_165
.LBB92_143:                             ;   in Loop: Header=BB92_12 Depth=1
	s_or_b32 exec_lo, exec_lo, s5
	s_and_saveexec_b32 s5, s4
	s_cbranch_execz .LBB92_145
.LBB92_144:                             ;   in Loop: Header=BB92_12 Depth=1
	s_waitcnt lgkmcnt(0)
	global_store_b16 v[6:7], v50, off offset:192
.LBB92_145:                             ;   in Loop: Header=BB92_12 Depth=1
	s_or_b32 exec_lo, exec_lo, s5
	s_waitcnt lgkmcnt(0)
	s_waitcnt_vscnt null, 0x0
	s_barrier
	buffer_gl0_inv
	ds_store_b32 v38, v10
	; wave barrier
	ds_load_u8 v8, v36
	ds_load_u8 v7, v43
	;; [unrolled: 1-line block ×3, first 2 shown]
	s_and_saveexec_b32 s5, s1
	s_cbranch_execnz .LBB92_166
; %bb.146:                              ;   in Loop: Header=BB92_12 Depth=1
	s_or_b32 exec_lo, exec_lo, s5
	s_and_saveexec_b32 s5, s2
	s_cbranch_execnz .LBB92_167
.LBB92_147:                             ;   in Loop: Header=BB92_12 Depth=1
	s_or_b32 exec_lo, exec_lo, s5
	s_and_saveexec_b32 s5, s3
	s_cbranch_execnz .LBB92_168
.LBB92_148:                             ;   in Loop: Header=BB92_12 Depth=1
	s_or_b32 exec_lo, exec_lo, s5
	s_and_saveexec_b32 s5, s4
	s_cbranch_execz .LBB92_150
.LBB92_149:                             ;   in Loop: Header=BB92_12 Depth=1
	s_waitcnt lgkmcnt(0)
	global_store_b8 v[2:3], v6, off offset:96
.LBB92_150:                             ;   in Loop: Header=BB92_12 Depth=1
	s_or_b32 exec_lo, exec_lo, s5
	s_waitcnt lgkmcnt(0)
	s_waitcnt_vscnt null, 0x0
	s_barrier
	buffer_gl0_inv
	ds_store_b8 v38, v53
	ds_store_b8 v38, v58 offset:1
	ds_store_b8 v38, v59 offset:2
	ds_store_b8 v38, v14 offset:3
	; wave barrier
	ds_load_u8 v6, v36
	ds_load_u8 v3, v43
	;; [unrolled: 1-line block ×3, first 2 shown]
	s_and_saveexec_b32 s5, s1
	s_cbranch_execnz .LBB92_169
; %bb.151:                              ;   in Loop: Header=BB92_12 Depth=1
	s_or_b32 exec_lo, exec_lo, s5
	s_and_saveexec_b32 s1, s2
	s_cbranch_execnz .LBB92_170
.LBB92_152:                             ;   in Loop: Header=BB92_12 Depth=1
	s_or_b32 exec_lo, exec_lo, s1
	s_and_saveexec_b32 s1, s3
	s_cbranch_execnz .LBB92_171
.LBB92_153:                             ;   in Loop: Header=BB92_12 Depth=1
	s_or_b32 exec_lo, exec_lo, s1
	s_and_saveexec_b32 s1, s4
	s_cbranch_execz .LBB92_10
	s_branch .LBB92_172
.LBB92_154:                             ;   in Loop: Header=BB92_12 Depth=1
	global_load_u8 v5, v[2:3], off
	v_mov_b32_e32 v4, 0x80
	v_mov_b32_e32 v6, 0x80
	s_or_b32 exec_lo, exec_lo, s5
	s_delay_alu instid0(VALU_DEP_2)
	v_mov_b32_e32 v7, v4
	s_and_saveexec_b32 s5, s2
	s_cbranch_execz .LBB92_22
.LBB92_155:                             ;   in Loop: Header=BB92_12 Depth=1
	global_load_u8 v7, v[2:3], off offset:32
	s_or_b32 exec_lo, exec_lo, s5
	s_and_saveexec_b32 s5, s3
	s_cbranch_execz .LBB92_23
.LBB92_156:                             ;   in Loop: Header=BB92_12 Depth=1
	global_load_u8 v4, v[2:3], off offset:64
	s_or_b32 exec_lo, exec_lo, s5
	s_and_saveexec_b32 s5, s4
	s_cbranch_execnz .LBB92_24
	s_branch .LBB92_25
.LBB92_157:                             ;   in Loop: Header=BB92_12 Depth=1
	global_load_u8 v7, v[4:5], off
	s_waitcnt vmcnt(0)
	v_and_b32_e32 v6, 0xffff, v7
	s_or_b32 exec_lo, exec_lo, s5
	s_and_saveexec_b32 s5, s2
	s_cbranch_execz .LBB92_27
.LBB92_158:                             ;   in Loop: Header=BB92_12 Depth=1
	global_load_u8 v9, v[4:5], off offset:32
	s_waitcnt vmcnt(0)
	v_lshlrev_b16 v9, 8, v9
	s_delay_alu instid0(VALU_DEP_1) | instskip(NEXT) | instid1(VALU_DEP_1)
	v_or_b32_e32 v6, v6, v9
	v_and_b32_e32 v6, 0xffff, v6
	s_or_b32 exec_lo, exec_lo, s5
	s_and_saveexec_b32 s5, s3
	s_cbranch_execz .LBB92_28
.LBB92_159:                             ;   in Loop: Header=BB92_12 Depth=1
	global_load_u8 v9, v[4:5], off offset:64
	s_waitcnt vmcnt(0)
	v_lshl_or_b32 v6, v9, 16, v6
	s_or_b32 exec_lo, exec_lo, s5
	s_and_saveexec_b32 s5, s4
	s_cbranch_execnz .LBB92_29
	s_branch .LBB92_30
.LBB92_160:                             ;   in Loop: Header=BB92_12 Depth=1
	global_load_u16 v0, v[6:7], off
	s_or_b32 exec_lo, exec_lo, s5
	s_and_saveexec_b32 s5, s2
	s_cbranch_execz .LBB92_32
.LBB92_161:                             ;   in Loop: Header=BB92_12 Depth=1
	global_load_u16 v51, v[6:7], off offset:64
	s_or_b32 exec_lo, exec_lo, s5
	s_and_saveexec_b32 s5, s3
	s_cbranch_execz .LBB92_33
.LBB92_162:                             ;   in Loop: Header=BB92_12 Depth=1
	global_load_u16 v1, v[6:7], off offset:128
	s_or_b32 exec_lo, exec_lo, s5
	s_and_saveexec_b32 s5, s4
	s_cbranch_execnz .LBB92_34
	s_branch .LBB92_35
.LBB92_163:                             ;   in Loop: Header=BB92_12 Depth=1
	s_waitcnt lgkmcnt(3)
	global_store_b16 v[6:7], v0, off
	s_or_b32 exec_lo, exec_lo, s5
	s_and_saveexec_b32 s5, s2
	s_cbranch_execz .LBB92_142
.LBB92_164:                             ;   in Loop: Header=BB92_12 Depth=1
	s_waitcnt lgkmcnt(2)
	global_store_b16 v[6:7], v51, off offset:64
	s_or_b32 exec_lo, exec_lo, s5
	s_and_saveexec_b32 s5, s3
	s_cbranch_execz .LBB92_143
.LBB92_165:                             ;   in Loop: Header=BB92_12 Depth=1
	s_waitcnt lgkmcnt(1)
	global_store_b16 v[6:7], v1, off offset:128
	s_or_b32 exec_lo, exec_lo, s5
	s_and_saveexec_b32 s5, s4
	s_cbranch_execnz .LBB92_144
	s_branch .LBB92_145
.LBB92_166:                             ;   in Loop: Header=BB92_12 Depth=1
	ds_load_u8 v9, v32
	s_waitcnt lgkmcnt(0)
	global_store_b8 v[2:3], v9, off
	s_or_b32 exec_lo, exec_lo, s5
	s_and_saveexec_b32 s5, s2
	s_cbranch_execz .LBB92_147
.LBB92_167:                             ;   in Loop: Header=BB92_12 Depth=1
	s_waitcnt lgkmcnt(2)
	global_store_b8 v[2:3], v8, off offset:32
	s_or_b32 exec_lo, exec_lo, s5
	s_and_saveexec_b32 s5, s3
	s_cbranch_execz .LBB92_148
.LBB92_168:                             ;   in Loop: Header=BB92_12 Depth=1
	s_waitcnt lgkmcnt(1)
	global_store_b8 v[2:3], v7, off offset:64
	s_or_b32 exec_lo, exec_lo, s5
	s_and_saveexec_b32 s5, s4
	s_cbranch_execnz .LBB92_149
	s_branch .LBB92_150
.LBB92_169:                             ;   in Loop: Header=BB92_12 Depth=1
	ds_load_u8 v7, v32
	s_waitcnt lgkmcnt(0)
	global_store_b8 v[4:5], v7, off
	s_or_b32 exec_lo, exec_lo, s5
	s_and_saveexec_b32 s1, s2
	s_cbranch_execz .LBB92_152
.LBB92_170:                             ;   in Loop: Header=BB92_12 Depth=1
	s_waitcnt lgkmcnt(2)
	global_store_b8 v[4:5], v6, off offset:32
	s_or_b32 exec_lo, exec_lo, s1
	s_and_saveexec_b32 s1, s3
	s_cbranch_execz .LBB92_153
.LBB92_171:                             ;   in Loop: Header=BB92_12 Depth=1
	s_waitcnt lgkmcnt(1)
	global_store_b8 v[4:5], v3, off offset:64
	s_or_b32 exec_lo, exec_lo, s1
	s_and_saveexec_b32 s1, s4
	s_cbranch_execz .LBB92_10
.LBB92_172:                             ;   in Loop: Header=BB92_12 Depth=1
	s_waitcnt lgkmcnt(0)
	global_store_b8 v[4:5], v2, off offset:96
	s_branch .LBB92_10
.LBB92_173:
	s_endpgm
	.section	.rodata,"a",@progbits
	.p2align	6, 0x0
	.amdhsa_kernel _Z26kOptimizerStatic8bit2StateI6__halfLi0EEvPT_S2_PhS3_PKffffffifPfS6_S6_S6_S6_S6_ffi
		.amdhsa_group_segment_fixed_size 10496
		.amdhsa_private_segment_fixed_size 0
		.amdhsa_kernarg_size 392
		.amdhsa_user_sgpr_count 15
		.amdhsa_user_sgpr_dispatch_ptr 0
		.amdhsa_user_sgpr_queue_ptr 0
		.amdhsa_user_sgpr_kernarg_segment_ptr 1
		.amdhsa_user_sgpr_dispatch_id 0
		.amdhsa_user_sgpr_private_segment_size 0
		.amdhsa_wavefront_size32 1
		.amdhsa_uses_dynamic_stack 0
		.amdhsa_enable_private_segment 0
		.amdhsa_system_sgpr_workgroup_id_x 1
		.amdhsa_system_sgpr_workgroup_id_y 0
		.amdhsa_system_sgpr_workgroup_id_z 0
		.amdhsa_system_sgpr_workgroup_info 0
		.amdhsa_system_vgpr_workitem_id 0
		.amdhsa_next_free_vgpr 77
		.amdhsa_next_free_sgpr 44
		.amdhsa_reserve_vcc 1
		.amdhsa_float_round_mode_32 0
		.amdhsa_float_round_mode_16_64 0
		.amdhsa_float_denorm_mode_32 3
		.amdhsa_float_denorm_mode_16_64 3
		.amdhsa_dx10_clamp 1
		.amdhsa_ieee_mode 1
		.amdhsa_fp16_overflow 0
		.amdhsa_workgroup_processor_mode 1
		.amdhsa_memory_ordered 1
		.amdhsa_forward_progress 0
		.amdhsa_shared_vgpr_count 0
		.amdhsa_exception_fp_ieee_invalid_op 0
		.amdhsa_exception_fp_denorm_src 0
		.amdhsa_exception_fp_ieee_div_zero 0
		.amdhsa_exception_fp_ieee_overflow 0
		.amdhsa_exception_fp_ieee_underflow 0
		.amdhsa_exception_fp_ieee_inexact 0
		.amdhsa_exception_int_div_zero 0
	.end_amdhsa_kernel
	.section	.text._Z26kOptimizerStatic8bit2StateI6__halfLi0EEvPT_S2_PhS3_PKffffffifPfS6_S6_S6_S6_S6_ffi,"axG",@progbits,_Z26kOptimizerStatic8bit2StateI6__halfLi0EEvPT_S2_PhS3_PKffffffifPfS6_S6_S6_S6_S6_ffi,comdat
.Lfunc_end92:
	.size	_Z26kOptimizerStatic8bit2StateI6__halfLi0EEvPT_S2_PhS3_PKffffffifPfS6_S6_S6_S6_S6_ffi, .Lfunc_end92-_Z26kOptimizerStatic8bit2StateI6__halfLi0EEvPT_S2_PhS3_PKffffffifPfS6_S6_S6_S6_S6_ffi
                                        ; -- End function
	.section	.AMDGPU.csdata,"",@progbits
; Kernel info:
; codeLenInByte = 12020
; NumSgprs: 46
; NumVgprs: 77
; ScratchSize: 0
; MemoryBound: 0
; FloatMode: 240
; IeeeMode: 1
; LDSByteSize: 10496 bytes/workgroup (compile time only)
; SGPRBlocks: 5
; VGPRBlocks: 9
; NumSGPRsForWavesPerEU: 46
; NumVGPRsForWavesPerEU: 77
; Occupancy: 16
; WaveLimiterHint : 0
; COMPUTE_PGM_RSRC2:SCRATCH_EN: 0
; COMPUTE_PGM_RSRC2:USER_SGPR: 15
; COMPUTE_PGM_RSRC2:TRAP_HANDLER: 0
; COMPUTE_PGM_RSRC2:TGID_X_EN: 1
; COMPUTE_PGM_RSRC2:TGID_Y_EN: 0
; COMPUTE_PGM_RSRC2:TGID_Z_EN: 0
; COMPUTE_PGM_RSRC2:TIDIG_COMP_CNT: 0
	.section	.text._Z26kOptimizerStatic8bit2StateIfLi0EEvPT_S1_PhS2_PKffffffifPfS5_S5_S5_S5_S5_ffi,"axG",@progbits,_Z26kOptimizerStatic8bit2StateIfLi0EEvPT_S1_PhS2_PKffffffifPfS5_S5_S5_S5_S5_ffi,comdat
